;; amdgpu-corpus repo=ggml-org/llama.cpp kind=compiled arch=gfx1250 opt=O3
	.amdgcn_target "amdgcn-amd-amdhsa--gfx1250"
	.amdhsa_code_object_version 6
	.section	.text._Z18ssm_scan_f32_groupILi4ELi128EEvPKfS1_S1_S1_S1_S1_PKiPfiiiiiiiiiiilllll,"axG",@progbits,_Z18ssm_scan_f32_groupILi4ELi128EEvPKfS1_S1_S1_S1_S1_PKiPfiiiiiiiiiiilllll,comdat
	.protected	_Z18ssm_scan_f32_groupILi4ELi128EEvPKfS1_S1_S1_S1_S1_PKiPfiiiiiiiiiiilllll ; -- Begin function _Z18ssm_scan_f32_groupILi4ELi128EEvPKfS1_S1_S1_S1_S1_PKiPfiiiiiiiiiiilllll
	.globl	_Z18ssm_scan_f32_groupILi4ELi128EEvPKfS1_S1_S1_S1_S1_PKiPfiiiiiiiiiiilllll
	.p2align	8
	.type	_Z18ssm_scan_f32_groupILi4ELi128EEvPKfS1_S1_S1_S1_S1_PKiPfiiiiiiiiiiilllll,@function
_Z18ssm_scan_f32_groupILi4ELi128EEvPKfS1_S1_S1_S1_S1_PKiPfiiiiiiiiiiilllll: ; @_Z18ssm_scan_f32_groupILi4ELi128EEvPKfS1_S1_S1_S1_S1_PKiPfiiiiiiiiiiilllll
; %bb.0:
	s_bfe_u32 s2, ttmp6, 0x4000c
	s_load_b256 s[20:27], s[0:1], 0x70
	s_add_co_i32 s2, s2, 1
	s_and_b32 s3, ttmp6, 15
	s_mul_i32 s2, ttmp9, s2
	s_getreg_b32 s28, hwreg(HW_REG_IB_STS2, 6, 4)
	v_lshrrev_b32_e32 v1, 5, v0
	s_add_co_i32 s3, s3, s2
	s_load_b64 s[34:35], s[0:1], 0x90
	s_cmp_eq_u32 s28, 0
                                        ; implicit-def: $vgpr12_vgpr13
	v_mov_b32_e32 v2, 0
	s_cselect_b32 s2, ttmp9, s3
	s_mov_b32 s3, 0
	v_lshl_or_b32 v10, s2, 2, v1
	s_mov_b32 s2, exec_lo
	s_delay_alu instid0(VALU_DEP_1) | instskip(SKIP_1) | instid1(VALU_DEP_1)
	v_ashrrev_i32_e32 v11, 31, v10
	s_wait_kmcnt 0x0
	v_or_b32_e32 v3, s25, v11
	s_delay_alu instid0(VALU_DEP_1)
	v_cmpx_ne_u64_e32 0, v[2:3]
	s_xor_b32 s8, exec_lo, s2
	s_cbranch_execz .LBB0_2
; %bb.1:
	s_ashr_i32 s4, s25, 31
	v_dual_mov_b32 v9, v2 :: v_dual_ashrrev_i32 v4, 31, v11
	s_mov_b32 s5, s4
	v_dual_mov_b32 v19, v2 :: v_dual_mov_b32 v3, v2
	s_add_nc_u64 s[6:7], s[24:25], s[4:5]
	s_delay_alu instid0(VALU_DEP_2) | instskip(SKIP_1) | instid1(SALU_CYCLE_1)
	v_mov_b32_e32 v5, v4
	s_xor_b64 s[6:7], s[6:7], s[4:5]
	s_cvt_f32_u32 s2, s6
	s_cvt_f32_u32 s5, s7
	s_sub_nc_u64 s[12:13], 0, s[6:7]
	v_add_nc_u64_e32 v[6:7], v[10:11], v[4:5]
	v_mov_b32_e32 v13, v2
	s_fmamk_f32 s2, s5, 0x4f800000, s2
	s_delay_alu instid0(SALU_CYCLE_3) | instskip(NEXT) | instid1(VALU_DEP_2)
	v_s_rcp_f32 s2, s2
	v_xor_b32_e32 v8, v6, v4
	s_delay_alu instid0(VALU_DEP_3) | instskip(SKIP_1) | instid1(TRANS32_DEP_1)
	v_xor_b32_e32 v12, v7, v4
	v_xor_b32_e32 v4, s4, v4
	s_mul_f32 s2, s2, 0x5f7ffffc
	s_delay_alu instid0(SALU_CYCLE_3) | instskip(NEXT) | instid1(SALU_CYCLE_3)
	s_mul_f32 s5, s2, 0x2f800000
	s_trunc_f32 s5, s5
	s_delay_alu instid0(SALU_CYCLE_3) | instskip(SKIP_1) | instid1(SALU_CYCLE_2)
	s_fmamk_f32 s2, s5, 0xcf800000, s2
	s_cvt_u32_f32 s11, s5
	s_cvt_u32_f32 s10, s2
	s_delay_alu instid0(SALU_CYCLE_3) | instskip(NEXT) | instid1(SALU_CYCLE_1)
	s_mul_u64 s[14:15], s[12:13], s[10:11]
	s_mul_hi_u32 s17, s10, s15
	s_mul_i32 s16, s10, s15
	s_mul_hi_u32 s2, s10, s14
	s_mul_i32 s9, s11, s14
	s_add_nc_u64 s[16:17], s[2:3], s[16:17]
	s_mul_hi_u32 s5, s11, s14
	s_mul_hi_u32 s18, s11, s15
	s_add_co_u32 s2, s16, s9
	s_add_co_ci_u32 s2, s17, s5
	s_mul_i32 s14, s11, s15
	s_add_co_ci_u32 s15, s18, 0
	s_delay_alu instid0(SALU_CYCLE_1) | instskip(NEXT) | instid1(SALU_CYCLE_1)
	s_add_nc_u64 s[14:15], s[2:3], s[14:15]
	s_add_co_u32 s10, s10, s14
	s_cselect_b32 s2, -1, 0
	s_delay_alu instid0(SALU_CYCLE_1) | instskip(SKIP_1) | instid1(SALU_CYCLE_1)
	s_cmp_lg_u32 s2, 0
	s_add_co_ci_u32 s11, s11, s15
	s_mul_u64 s[12:13], s[12:13], s[10:11]
	s_delay_alu instid0(SALU_CYCLE_1)
	s_mul_hi_u32 s15, s10, s13
	s_mul_i32 s14, s10, s13
	s_mul_hi_u32 s2, s10, s12
	s_mul_i32 s9, s11, s12
	s_add_nc_u64 s[14:15], s[2:3], s[14:15]
	s_mul_hi_u32 s5, s11, s12
	s_mul_hi_u32 s16, s11, s13
	s_add_co_u32 s2, s14, s9
	s_add_co_ci_u32 s2, s15, s5
	s_mul_i32 s12, s11, s13
	s_add_co_ci_u32 s13, s16, 0
	s_delay_alu instid0(SALU_CYCLE_1) | instskip(NEXT) | instid1(SALU_CYCLE_1)
	s_add_nc_u64 s[12:13], s[2:3], s[12:13]
	s_add_co_u32 s10, s10, s12
	s_cselect_b32 s2, -1, 0
	v_mul_hi_u32 v18, v8, s10
	s_cmp_lg_u32 s2, 0
	s_add_co_ci_u32 s2, s11, s13
	s_mov_b64 s[12:13], 0xffffffff
	v_mul_u64_e32 v[14:15], s[2:3], v[8:9]
	s_and_b64 s[12:13], s[10:11], s[12:13]
	v_mul_u64_e32 v[16:17], s[2:3], v[12:13]
	v_mul_u64_e32 v[6:7], s[12:13], v[12:13]
	s_delay_alu instid0(VALU_DEP_3) | instskip(NEXT) | instid1(VALU_DEP_1)
	v_add_nc_u64_e32 v[14:15], v[18:19], v[14:15]
	v_add_co_u32 v1, vcc_lo, v14, v6
	s_delay_alu instid0(VALU_DEP_2) | instskip(SKIP_1) | instid1(VALU_DEP_1)
	v_add_co_ci_u32_e32 v2, vcc_lo, v15, v7, vcc_lo
	v_add_co_ci_u32_e32 v17, vcc_lo, 0, v17, vcc_lo
	v_add_nc_u64_e32 v[2:3], v[2:3], v[16:17]
	s_delay_alu instid0(VALU_DEP_1) | instskip(NEXT) | instid1(VALU_DEP_1)
	v_mul_u64_e32 v[6:7], s[6:7], v[2:3]
	v_sub_nc_u32_e32 v1, v12, v7
	s_delay_alu instid0(VALU_DEP_2) | instskip(NEXT) | instid1(VALU_DEP_1)
	v_sub_co_u32 v5, vcc_lo, v8, v6
	v_sub_co_ci_u32_e64 v12, null, v12, v7, vcc_lo
	s_delay_alu instid0(VALU_DEP_3) | instskip(NEXT) | instid1(VALU_DEP_3)
	v_subrev_co_ci_u32_e64 v1, null, s7, v1, vcc_lo
	v_sub_co_u32 v6, s2, v5, s6
	v_add_nc_u64_e32 v[8:9], 1, v[2:3]
	s_delay_alu instid0(VALU_DEP_3) | instskip(NEXT) | instid1(VALU_DEP_3)
	v_subrev_co_ci_u32_e64 v1, null, 0, v1, s2
	v_cmp_le_u32_e32 vcc_lo, s6, v6
	v_cndmask_b32_e64 v6, 0, -1, vcc_lo
	s_delay_alu instid0(VALU_DEP_3)
	v_cmp_le_u32_e32 vcc_lo, s7, v1
	v_cndmask_b32_e64 v7, 0, -1, vcc_lo
	v_cmp_le_u32_e32 vcc_lo, s6, v5
	v_cndmask_b32_e64 v5, 0, -1, vcc_lo
	;; [unrolled: 2-line block ×3, first 2 shown]
	v_cmp_eq_u32_e32 vcc_lo, s7, v1
	v_cndmask_b32_e32 v1, v7, v6, vcc_lo
	v_cmp_eq_u32_e32 vcc_lo, s7, v12
	v_add_nc_u64_e32 v[6:7], 2, v[2:3]
	v_cndmask_b32_e32 v5, v13, v5, vcc_lo
	s_delay_alu instid0(VALU_DEP_4) | instskip(NEXT) | instid1(VALU_DEP_2)
	v_cmp_ne_u32_e32 vcc_lo, 0, v1
	v_cmp_ne_u32_e64 s2, 0, v5
	s_delay_alu instid0(VALU_DEP_4) | instskip(NEXT) | instid1(VALU_DEP_1)
	v_dual_cndmask_b32 v1, v9, v7, vcc_lo :: v_dual_cndmask_b32 v5, v8, v6, vcc_lo
	v_cndmask_b32_e64 v1, v3, v1, s2
	s_delay_alu instid0(VALU_DEP_2) | instskip(NEXT) | instid1(VALU_DEP_2)
	v_dual_cndmask_b32 v2, v2, v5, s2 :: v_dual_mov_b32 v5, v4
	v_xor_b32_e32 v3, v1, v4
	s_delay_alu instid0(VALU_DEP_2) | instskip(NEXT) | instid1(VALU_DEP_1)
	v_xor_b32_e32 v2, v2, v4
	v_sub_nc_u64_e32 v[12:13], v[2:3], v[4:5]
.LBB0_2:
	s_and_not1_saveexec_b32 s2, s8
	s_cbranch_execz .LBB0_4
; %bb.3:
	v_cvt_f32_u32_e32 v1, s24
	s_sub_co_i32 s3, 0, s24
	s_delay_alu instid0(VALU_DEP_1) | instskip(SKIP_1) | instid1(TRANS32_DEP_1)
	v_rcp_iflag_f32_e32 v1, v1
	v_nop
	v_mul_f32_e32 v1, 0x4f7ffffe, v1
	s_delay_alu instid0(VALU_DEP_1) | instskip(NEXT) | instid1(VALU_DEP_1)
	v_cvt_u32_f32_e32 v1, v1
	v_mul_lo_u32 v2, s3, v1
	s_delay_alu instid0(VALU_DEP_1) | instskip(NEXT) | instid1(VALU_DEP_1)
	v_mul_hi_u32 v2, v1, v2
	v_add_nc_u32_e32 v1, v1, v2
	s_delay_alu instid0(VALU_DEP_1) | instskip(NEXT) | instid1(VALU_DEP_1)
	v_mul_hi_u32 v1, v10, v1
	v_mul_lo_u32 v2, v1, s24
	s_delay_alu instid0(VALU_DEP_1) | instskip(NEXT) | instid1(VALU_DEP_1)
	v_dual_add_nc_u32 v3, 1, v1 :: v_dual_sub_nc_u32 v2, v10, v2
	v_subrev_nc_u32_e32 v4, s24, v2
	v_cmp_le_u32_e32 vcc_lo, s24, v2
	s_delay_alu instid0(VALU_DEP_2) | instskip(NEXT) | instid1(VALU_DEP_1)
	v_dual_cndmask_b32 v2, v2, v4 :: v_dual_cndmask_b32 v1, v1, v3
	v_cmp_le_u32_e32 vcc_lo, s24, v2
	s_delay_alu instid0(VALU_DEP_2) | instskip(NEXT) | instid1(VALU_DEP_1)
	v_add_nc_u32_e32 v3, 1, v1
	v_cndmask_b32_e32 v12, v1, v3, vcc_lo
.LBB0_4:
	s_or_b32 exec_lo, exec_lo, s2
	s_load_b512 s[4:19], s[0:1], 0x0
	s_bfe_u32 s2, ttmp6, 0x40010
	s_bfe_u32 s3, ttmp6, 0x40004
	s_add_co_i32 s2, s2, 1
	s_load_b256 s[36:43], s[0:1], 0x40
	s_mul_i32 s2, ttmp7, s2
	v_mul_lo_u32 v1, v12, s24
	s_add_co_i32 s3, s3, s2
	s_cmp_eq_u32 s28, 0
	v_and_b32_e32 v20, 31, v0
	s_cselect_b32 s2, ttmp7, s3
	s_delay_alu instid0(SALU_CYCLE_1) | instskip(NEXT) | instid1(SALU_CYCLE_1)
	s_ashr_i32 s3, s2, 31
	s_lshl_b64 s[28:29], s[2:3], 2
	s_delay_alu instid0(VALU_DEP_1) | instskip(SKIP_4) | instid1(VALU_DEP_1)
	v_lshlrev_b32_e32 v0, 2, v20
	s_wait_kmcnt 0x0
	s_add_nc_u64 s[16:17], s[16:17], s[28:29]
	s_load_b32 s16, s[16:17], 0x0
	v_mul_lo_u32 v2, s36, v12
	v_dual_sub_nc_u32 v1, v10, v1 :: v_dual_ashrrev_i32 v3, 31, v2
	s_delay_alu instid0(VALU_DEP_1) | instskip(NEXT) | instid1(VALU_DEP_1)
	v_dual_mov_b32 v1, 0 :: v_dual_lshlrev_b32 v4, 9, v1
	v_ashrrev_i32_e32 v5, 31, v4
	s_wait_kmcnt 0x0
	s_mul_i32 s16, s16, s37
	s_delay_alu instid0(SALU_CYCLE_1) | instskip(NEXT) | instid1(SALU_CYCLE_1)
	s_ashr_i32 s17, s16, 31
	s_add_nc_u64 s[4:5], s[4:5], s[16:17]
	s_delay_alu instid0(SALU_CYCLE_1) | instskip(SKIP_1) | instid1(VALU_DEP_2)
	v_add_nc_u64_e32 v[6:7], s[4:5], v[2:3]
	v_cmp_lt_i64_e64 s4, s[34:35], 1
	v_add_nc_u64_e32 v[6:7], v[6:7], v[4:5]
	s_and_b32 vcc_lo, exec_lo, s4
	s_delay_alu instid0(VALU_DEP_1)
	v_add_nc_u64_e32 v[14:15], v[6:7], v[0:1]
	s_clause 0x3
	global_load_b32 v8, v[14:15], off
	global_load_b32 v9, v[14:15], off offset:128
	global_load_b32 v6, v[14:15], off offset:256
	;; [unrolled: 1-line block ×3, first 2 shown]
	s_cbranch_vccnz .LBB0_18
; %bb.5:
	s_or_b64 s[4:5], s[22:23], s[26:27]
	s_delay_alu instid0(SALU_CYCLE_1) | instskip(NEXT) | instid1(SALU_CYCLE_1)
	s_and_b64 s[4:5], s[4:5], 0xffffffff00000000
	s_cmp_lg_u64 s[4:5], 0
	s_cbranch_scc0 .LBB0_19
; %bb.6:
	s_ashr_i32 s4, s27, 31
	s_delay_alu instid0(SALU_CYCLE_1) | instskip(NEXT) | instid1(SALU_CYCLE_1)
	s_mov_b32 s5, s4
	s_add_nc_u64 s[16:17], s[26:27], s[4:5]
	s_delay_alu instid0(SALU_CYCLE_1) | instskip(NEXT) | instid1(SALU_CYCLE_1)
	s_xor_b64 s[28:29], s[16:17], s[4:5]
	s_cvt_f32_u32 s16, s28
	s_cvt_f32_u32 s17, s29
	s_sub_nc_u64 s[44:45], 0, s[28:29]
	s_delay_alu instid0(SALU_CYCLE_2) | instskip(NEXT) | instid1(SALU_CYCLE_3)
	s_fmamk_f32 s16, s17, 0x4f800000, s16
	v_s_rcp_f32 s16, s16
	s_delay_alu instid0(TRANS32_DEP_1) | instskip(NEXT) | instid1(SALU_CYCLE_3)
	s_mul_f32 s16, s16, 0x5f7ffffc
	s_mul_f32 s17, s16, 0x2f800000
	s_delay_alu instid0(SALU_CYCLE_3) | instskip(NEXT) | instid1(SALU_CYCLE_3)
	s_trunc_f32 s17, s17
	s_fmamk_f32 s16, s17, 0xcf800000, s16
	s_cvt_u32_f32 s31, s17
	s_mov_b32 s17, 0
	s_delay_alu instid0(SALU_CYCLE_1) | instskip(NEXT) | instid1(SALU_CYCLE_3)
	s_cvt_u32_f32 s30, s16
	s_mul_u64 s[46:47], s[44:45], s[30:31]
	s_delay_alu instid0(SALU_CYCLE_1)
	s_mul_hi_u32 s49, s30, s47
	s_mul_i32 s48, s30, s47
	s_mul_hi_u32 s16, s30, s46
	s_mul_i32 s33, s31, s46
	s_add_nc_u64 s[48:49], s[16:17], s[48:49]
	s_mul_hi_u32 s27, s31, s46
	s_mul_hi_u32 s36, s31, s47
	s_add_co_u32 s16, s48, s33
	s_add_co_ci_u32 s16, s49, s27
	s_mul_i32 s46, s31, s47
	s_add_co_ci_u32 s47, s36, 0
	s_delay_alu instid0(SALU_CYCLE_1) | instskip(NEXT) | instid1(SALU_CYCLE_1)
	s_add_nc_u64 s[46:47], s[16:17], s[46:47]
	s_add_co_u32 s30, s30, s46
	s_cselect_b32 s16, -1, 0
	s_delay_alu instid0(SALU_CYCLE_1) | instskip(SKIP_1) | instid1(SALU_CYCLE_1)
	s_cmp_lg_u32 s16, 0
	s_add_co_ci_u32 s31, s31, s47
	s_mul_u64 s[44:45], s[44:45], s[30:31]
	s_delay_alu instid0(SALU_CYCLE_1)
	s_mul_hi_u32 s47, s30, s45
	s_mul_i32 s46, s30, s45
	s_mul_hi_u32 s16, s30, s44
	s_mul_i32 s33, s31, s44
	s_add_nc_u64 s[46:47], s[16:17], s[46:47]
	s_mul_hi_u32 s27, s31, s44
	s_mul_hi_u32 s36, s31, s45
	s_add_co_u32 s16, s46, s33
	s_add_co_ci_u32 s16, s47, s27
	s_mul_i32 s44, s31, s45
	s_add_co_ci_u32 s45, s36, 0
	s_delay_alu instid0(SALU_CYCLE_1) | instskip(NEXT) | instid1(SALU_CYCLE_1)
	s_add_nc_u64 s[44:45], s[16:17], s[44:45]
	s_add_co_u32 s27, s30, s44
	s_cselect_b32 s16, -1, 0
	s_delay_alu instid0(SALU_CYCLE_1) | instskip(SKIP_2) | instid1(SALU_CYCLE_1)
	s_cmp_lg_u32 s16, 0
	s_add_co_ci_u32 s33, s31, s45
	s_ashr_i32 s30, s23, 31
	s_mov_b32 s31, s30
	s_delay_alu instid0(SALU_CYCLE_1) | instskip(NEXT) | instid1(SALU_CYCLE_1)
	s_add_nc_u64 s[44:45], s[22:23], s[30:31]
	s_xor_b64 s[44:45], s[44:45], s[30:31]
	s_delay_alu instid0(SALU_CYCLE_1)
	s_mul_hi_u32 s47, s44, s33
	s_mul_i32 s46, s44, s33
	s_mul_hi_u32 s16, s44, s27
	s_mul_hi_u32 s49, s45, s27
	s_mul_i32 s27, s45, s27
	s_add_nc_u64 s[46:47], s[16:17], s[46:47]
	s_mul_hi_u32 s36, s45, s33
	s_add_co_u32 s16, s46, s27
	s_add_co_ci_u32 s16, s47, s49
	s_mul_i32 s48, s45, s33
	s_add_co_ci_u32 s49, s36, 0
	s_delay_alu instid0(SALU_CYCLE_1) | instskip(NEXT) | instid1(SALU_CYCLE_1)
	s_add_nc_u64 s[46:47], s[16:17], s[48:49]
	s_and_b64 s[48:49], s[46:47], 0xffffffff00000000
	s_delay_alu instid0(SALU_CYCLE_1) | instskip(NEXT) | instid1(SALU_CYCLE_1)
	s_or_b32 s48, s48, s46
	s_mul_u64 s[46:47], s[28:29], s[48:49]
	s_add_nc_u64 s[50:51], s[48:49], 1
	s_sub_co_u32 s16, s44, s46
	s_cselect_b32 s27, -1, 0
	s_sub_co_i32 s33, s45, s47
	s_cmp_lg_u32 s27, 0
	s_add_nc_u64 s[52:53], s[48:49], 2
	s_sub_co_ci_u32 s33, s33, s29
	s_sub_co_u32 s36, s16, s28
	s_cselect_b32 s44, -1, 0
	s_delay_alu instid0(SALU_CYCLE_1) | instskip(SKIP_1) | instid1(SALU_CYCLE_1)
	s_cmp_lg_u32 s44, 0
	s_sub_co_ci_u32 s33, s33, 0
	s_cmp_ge_u32 s33, s29
	s_cselect_b32 s44, -1, 0
	s_cmp_ge_u32 s36, s28
	s_cselect_b32 s36, -1, 0
	s_cmp_eq_u32 s33, s29
	s_cselect_b32 s33, s36, s44
	s_delay_alu instid0(SALU_CYCLE_1) | instskip(SKIP_4) | instid1(SALU_CYCLE_1)
	s_cmp_lg_u32 s33, 0
	s_cselect_b32 s33, s52, s50
	s_cselect_b32 s36, s53, s51
	s_cmp_lg_u32 s27, 0
	s_sub_co_ci_u32 s27, s45, s47
	s_cmp_ge_u32 s27, s29
	s_cselect_b32 s44, -1, 0
	s_cmp_ge_u32 s16, s28
	s_cselect_b32 s16, -1, 0
	s_cmp_eq_u32 s27, s29
	s_cselect_b32 s16, s16, s44
	s_delay_alu instid0(SALU_CYCLE_1) | instskip(SKIP_3) | instid1(SALU_CYCLE_1)
	s_cmp_lg_u32 s16, 0
	s_cselect_b32 s29, s36, s49
	s_cselect_b32 s28, s33, s48
	s_xor_b64 s[4:5], s[30:31], s[4:5]
	s_xor_b64 s[28:29], s[28:29], s[4:5]
	s_delay_alu instid0(SALU_CYCLE_1)
	s_sub_nc_u64 s[4:5], s[28:29], s[4:5]
	s_load_b96 s[28:30], s[0:1], 0x60
	s_cbranch_execnz .LBB0_8
.LBB0_7:
	v_cvt_f32_u32_e32 v1, s26
	s_wait_xcnt 0x0
	s_sub_co_i32 s1, 0, s26
	s_delay_alu instid0(VALU_DEP_1) | instskip(SKIP_1) | instid1(TRANS32_DEP_1)
	v_rcp_iflag_f32_e32 v1, v1
	v_nop
	v_mul_f32_e32 v1, 0x4f7ffffe, v1
	s_delay_alu instid0(VALU_DEP_1) | instskip(NEXT) | instid1(VALU_DEP_1)
	v_cvt_u32_f32_e32 v1, v1
	v_readfirstlane_b32 s0, v1
	s_mul_i32 s1, s1, s0
	s_delay_alu instid0(SALU_CYCLE_1) | instskip(NEXT) | instid1(SALU_CYCLE_1)
	s_mul_hi_u32 s1, s0, s1
	s_add_co_i32 s0, s0, s1
	s_delay_alu instid0(SALU_CYCLE_1) | instskip(NEXT) | instid1(SALU_CYCLE_1)
	s_mul_hi_u32 s0, s22, s0
	s_mul_i32 s1, s0, s26
	s_add_co_i32 s4, s0, 1
	s_sub_co_i32 s1, s22, s1
	s_delay_alu instid0(SALU_CYCLE_1)
	s_sub_co_i32 s5, s1, s26
	s_cmp_ge_u32 s1, s26
	s_cselect_b32 s0, s4, s0
	s_cselect_b32 s1, s5, s1
	s_add_co_i32 s4, s0, 1
	s_cmp_ge_u32 s1, s26
	s_mov_b32 s5, 0
	s_cselect_b32 s4, s4, s0
.LBB0_8:
	v_dual_mov_b32 v14, 0 :: v_dual_ashrrev_i32 v13, 31, v12
                                        ; implicit-def: $vgpr16_vgpr17
	s_wait_xcnt 0x0
	s_mov_b32 s0, exec_lo
	s_delay_alu instid0(VALU_DEP_1) | instskip(NEXT) | instid1(VALU_DEP_1)
	v_or_b32_e32 v15, s5, v13
	v_cmpx_ne_u64_e32 0, v[14:15]
	s_xor_b32 s1, exec_lo, s0
	s_cbranch_execz .LBB0_10
; %bb.9:
	s_ashr_i32 s16, s5, 31
	s_mov_b32 s51, 0
	s_mov_b32 s17, s16
	v_dual_mov_b32 v23, v14 :: v_dual_ashrrev_i32 v16, 31, v13
	s_add_nc_u64 s[26:27], s[4:5], s[16:17]
	s_delay_alu instid0(SALU_CYCLE_1) | instskip(NEXT) | instid1(VALU_DEP_1)
	s_xor_b64 s[26:27], s[26:27], s[16:17]
	v_mov_b32_e32 v17, v16
	s_cvt_f32_u32 s0, s26
	s_cvt_f32_u32 s5, s27
	s_sub_nc_u64 s[46:47], 0, s[26:27]
	s_delay_alu instid0(VALU_DEP_1) | instskip(NEXT) | instid1(SALU_CYCLE_1)
	v_add_nc_u64_e32 v[18:19], v[12:13], v[16:17]
	s_fmamk_f32 s0, s5, 0x4f800000, s0
	v_mov_b32_e32 v25, v14
	s_delay_alu instid0(SALU_CYCLE_2) | instskip(NEXT) | instid1(VALU_DEP_2)
	v_s_rcp_f32 s0, s0
	v_xor_b32_e32 v22, v18, v16
	s_delay_alu instid0(VALU_DEP_3) | instskip(NEXT) | instid1(TRANS32_DEP_1)
	v_dual_mov_b32 v31, v14 :: v_dual_bitop2_b32 v24, v19, v16 bitop3:0x14
	s_mul_f32 s0, s0, 0x5f7ffffc
	s_delay_alu instid0(SALU_CYCLE_3) | instskip(NEXT) | instid1(SALU_CYCLE_3)
	s_mul_f32 s5, s0, 0x2f800000
	s_trunc_f32 s5, s5
	s_delay_alu instid0(SALU_CYCLE_3) | instskip(SKIP_1) | instid1(SALU_CYCLE_2)
	s_fmamk_f32 s0, s5, 0xcf800000, s0
	s_cvt_u32_f32 s45, s5
	s_cvt_u32_f32 s44, s0
	s_delay_alu instid0(SALU_CYCLE_3) | instskip(NEXT) | instid1(SALU_CYCLE_1)
	s_mul_u64 s[48:49], s[46:47], s[44:45]
	s_mul_hi_u32 s53, s44, s49
	s_mul_i32 s52, s44, s49
	s_mul_hi_u32 s50, s44, s48
	s_mul_i32 s5, s45, s48
	s_add_nc_u64 s[52:53], s[50:51], s[52:53]
	s_mul_hi_u32 s0, s45, s48
	s_mul_hi_u32 s17, s45, s49
	s_add_co_u32 s5, s52, s5
	s_add_co_ci_u32 s50, s53, s0
	s_mul_i32 s48, s45, s49
	s_add_co_ci_u32 s49, s17, 0
	s_delay_alu instid0(SALU_CYCLE_1) | instskip(NEXT) | instid1(SALU_CYCLE_1)
	s_add_nc_u64 s[48:49], s[50:51], s[48:49]
	s_add_co_u32 s44, s44, s48
	s_cselect_b32 s0, -1, 0
	s_delay_alu instid0(SALU_CYCLE_1) | instskip(SKIP_1) | instid1(SALU_CYCLE_1)
	s_cmp_lg_u32 s0, 0
	s_add_co_ci_u32 s45, s45, s49
	s_mul_u64 s[46:47], s[46:47], s[44:45]
	s_delay_alu instid0(SALU_CYCLE_1)
	s_mul_hi_u32 s49, s44, s47
	s_mul_i32 s48, s44, s47
	s_mul_hi_u32 s50, s44, s46
	s_mul_i32 s5, s45, s46
	s_add_nc_u64 s[48:49], s[50:51], s[48:49]
	s_mul_hi_u32 s0, s45, s46
	s_mul_hi_u32 s17, s45, s47
	s_add_co_u32 s5, s48, s5
	s_add_co_ci_u32 s50, s49, s0
	s_mul_i32 s46, s45, s47
	s_add_co_ci_u32 s47, s17, 0
	s_delay_alu instid0(SALU_CYCLE_1) | instskip(NEXT) | instid1(SALU_CYCLE_1)
	s_add_nc_u64 s[46:47], s[50:51], s[46:47]
	s_add_co_u32 s0, s44, s46
	s_cselect_b32 s5, -1, 0
	v_mul_hi_u32 v30, v22, s0
	s_cmp_lg_u32 s5, 0
	s_add_co_ci_u32 s50, s45, s47
	s_mov_b64 s[44:45], 0xffffffff
	v_mul_u64_e32 v[26:27], s[50:51], v[22:23]
	s_and_b64 s[44:45], s[0:1], s[44:45]
	v_mul_u64_e32 v[28:29], s[50:51], v[24:25]
	v_mul_u64_e32 v[18:19], s[44:45], v[24:25]
	s_delay_alu instid0(VALU_DEP_3) | instskip(NEXT) | instid1(VALU_DEP_1)
	v_add_nc_u64_e32 v[26:27], v[30:31], v[26:27]
	v_add_co_u32 v1, vcc_lo, v26, v18
	s_delay_alu instid0(VALU_DEP_2) | instskip(SKIP_1) | instid1(VALU_DEP_1)
	v_add_co_ci_u32_e32 v30, vcc_lo, v27, v19, vcc_lo
	v_add_co_ci_u32_e32 v29, vcc_lo, 0, v29, vcc_lo
	v_add_nc_u64_e32 v[18:19], v[30:31], v[28:29]
	s_delay_alu instid0(VALU_DEP_1) | instskip(NEXT) | instid1(VALU_DEP_1)
	v_mul_u64_e32 v[26:27], s[26:27], v[18:19]
	v_sub_nc_u32_e32 v1, v24, v27
	s_delay_alu instid0(VALU_DEP_2) | instskip(NEXT) | instid1(VALU_DEP_1)
	v_sub_co_u32 v13, vcc_lo, v22, v26
	v_sub_co_ci_u32_e64 v17, null, v24, v27, vcc_lo
	s_delay_alu instid0(VALU_DEP_3) | instskip(NEXT) | instid1(VALU_DEP_3)
	v_subrev_co_ci_u32_e64 v1, null, s27, v1, vcc_lo
	v_sub_co_u32 v15, s0, v13, s26
	v_add_nc_u64_e32 v[22:23], 2, v[18:19]
	s_delay_alu instid0(VALU_DEP_3) | instskip(NEXT) | instid1(VALU_DEP_3)
	v_subrev_co_ci_u32_e64 v1, null, 0, v1, s0
	v_cmp_le_u32_e32 vcc_lo, s26, v15
	v_add_nc_u64_e32 v[24:25], 1, v[18:19]
	v_cndmask_b32_e64 v15, 0, -1, vcc_lo
	s_delay_alu instid0(VALU_DEP_4)
	v_cmp_le_u32_e32 vcc_lo, s27, v1
	v_cndmask_b32_e64 v21, 0, -1, vcc_lo
	v_cmp_le_u32_e32 vcc_lo, s26, v13
	v_cndmask_b32_e64 v13, 0, -1, vcc_lo
	;; [unrolled: 2-line block ×3, first 2 shown]
	v_cmp_eq_u32_e32 vcc_lo, s27, v1
	v_cndmask_b32_e32 v1, v21, v15, vcc_lo
	v_cmp_eq_u32_e32 vcc_lo, s27, v17
	s_delay_alu instid0(VALU_DEP_4) | instskip(NEXT) | instid1(VALU_DEP_3)
	v_cndmask_b32_e32 v13, v26, v13, vcc_lo
	v_cmp_ne_u32_e32 vcc_lo, 0, v1
	s_delay_alu instid0(VALU_DEP_2) | instskip(SKIP_1) | instid1(VALU_DEP_1)
	v_cmp_ne_u32_e64 s0, 0, v13
	v_dual_cndmask_b32 v1, v25, v23, vcc_lo :: v_dual_cndmask_b32 v13, v24, v22, vcc_lo
	v_dual_cndmask_b32 v1, v19, v1, s0 :: v_dual_bitop2_b32 v16, s16, v16 bitop3:0x14
	s_delay_alu instid0(VALU_DEP_1) | instskip(NEXT) | instid1(VALU_DEP_2)
	v_dual_cndmask_b32 v13, v18, v13, s0 :: v_dual_mov_b32 v17, v16
	v_xor_b32_e32 v19, v1, v16
	s_delay_alu instid0(VALU_DEP_2) | instskip(NEXT) | instid1(VALU_DEP_1)
	v_xor_b32_e32 v18, v13, v16
	v_sub_nc_u64_e32 v[16:17], v[18:19], v[16:17]
.LBB0_10:
	s_or_saveexec_b32 s0, s1
	v_mov_b32_e32 v15, v12
	s_xor_b32 exec_lo, exec_lo, s0
	s_cbranch_execz .LBB0_12
; %bb.11:
	v_cvt_f32_u32_e32 v1, s4
	s_sub_co_i32 s1, 0, s4
	s_delay_alu instid0(VALU_DEP_1) | instskip(SKIP_1) | instid1(TRANS32_DEP_1)
	v_rcp_iflag_f32_e32 v1, v1
	v_nop
	v_mul_f32_e32 v1, 0x4f7ffffe, v1
	s_delay_alu instid0(VALU_DEP_1) | instskip(NEXT) | instid1(VALU_DEP_1)
	v_cvt_u32_f32_e32 v1, v1
	v_mul_lo_u32 v13, s1, v1
	s_delay_alu instid0(VALU_DEP_1) | instskip(NEXT) | instid1(VALU_DEP_1)
	v_mul_hi_u32 v13, v1, v13
	v_add_nc_u32_e32 v1, v1, v13
	s_delay_alu instid0(VALU_DEP_1) | instskip(NEXT) | instid1(VALU_DEP_1)
	v_mul_hi_u32 v1, v15, v1
	v_mul_lo_u32 v13, v1, s4
	v_add_nc_u32_e32 v16, 1, v1
	s_delay_alu instid0(VALU_DEP_2) | instskip(NEXT) | instid1(VALU_DEP_1)
	v_sub_nc_u32_e32 v13, v15, v13
	v_subrev_nc_u32_e32 v17, s4, v13
	v_cmp_le_u32_e32 vcc_lo, s4, v13
	s_delay_alu instid0(VALU_DEP_2) | instskip(SKIP_1) | instid1(VALU_DEP_2)
	v_cndmask_b32_e32 v13, v13, v17, vcc_lo
	v_cndmask_b32_e32 v1, v1, v16, vcc_lo
	v_cmp_le_u32_e32 vcc_lo, s4, v13
	s_delay_alu instid0(VALU_DEP_2) | instskip(NEXT) | instid1(VALU_DEP_1)
	v_add_nc_u32_e32 v16, 1, v1
	v_cndmask_b32_e32 v16, v1, v16, vcc_lo
.LBB0_12:
	s_or_b32 exec_lo, exec_lo, s0
	v_mul_lo_u32 v18, s42, v12
	v_lshlrev_b64_e32 v[22:23], 2, v[10:11]
	s_mul_u64 s[22:23], s[24:25], s[22:23]
	v_mbcnt_lo_u32_b32 v1, -1, 0
	s_wait_kmcnt 0x0
	s_mul_i32 s26, s30, s2
	s_mul_u64 s[30:31], s[22:23], s[2:3]
	s_mul_i32 s4, s39, s2
	s_mul_u64 s[30:31], s[30:31], s[34:35]
	s_ashr_i32 s5, s4, 31
	s_lshl_b64 s[30:31], s[30:31], 2
	s_add_nc_u64 s[4:5], s[6:7], s[4:5]
	v_dual_ashrrev_i32 v19, 31, v18 :: v_dual_lshlrev_b32 v10, 9, v16
	s_add_nc_u64 s[30:31], s[18:19], s[30:31]
	v_add_nc_u64_e32 v[12:13], s[4:5], v[22:23]
	v_xor_b32_e32 v24, 2, v1
	s_delay_alu instid0(VALU_DEP_3)
	v_dual_ashrrev_i32 v11, 31, v10 :: v_dual_bitop2_b32 v21, 16, v1 bitop3:0x14
	v_add_nc_u64_e32 v[16:17], s[10:11], v[18:19]
	v_add_nc_u64_e32 v[18:19], s[30:31], v[22:23]
	v_xor_b32_e32 v23, 4, v1
	v_xor_b32_e32 v22, 8, v1
	v_cmp_gt_i32_e32 vcc_lo, 32, v21
	s_mul_i32 s24, s41, s2
	v_ashrrev_i64 v[14:15], 30, v[14:15]
	s_ashr_i32 s25, s24, 31
	s_ashr_i32 s27, s26, 31
	v_cndmask_b32_e32 v21, v1, v21, vcc_lo
	v_cmp_gt_i32_e32 vcc_lo, 32, v22
	s_add_nc_u64 s[6:7], s[8:9], s[24:25]
	s_mul_i32 s8, s28, s2
	s_add_nc_u64 s[10:11], s[14:15], s[26:27]
	s_ashr_i32 s9, s8, 31
	v_cndmask_b32_e32 v22, v1, v22, vcc_lo
	v_cmp_gt_i32_e32 vcc_lo, 32, v23
	v_lshlrev_b32_e32 v26, 2, v21
	s_add_nc_u64 s[8:9], s[12:13], s[8:9]
	v_add_nc_u64_e32 v[14:15], s[6:7], v[14:15]
	v_dual_lshlrev_b32 v27, 2, v22 :: v_dual_cndmask_b32 v23, v1, v23, vcc_lo
	v_xor_b32_e32 v25, 1, v1
	v_cmp_gt_i32_e32 vcc_lo, 32, v24
	s_ashr_i32 s0, s43, 2
	s_ashr_i32 s16, s38, 2
	v_lshlrev_b32_e32 v28, 2, v23
	s_ashr_i32 s6, s40, 2
	v_cndmask_b32_e32 v24, v1, v24, vcc_lo
	v_cmp_gt_i32_e32 vcc_lo, 32, v25
	s_ashr_i32 s24, s29, 2
	s_ashr_i32 s7, s6, 31
	;; [unrolled: 1-line block ×3, first 2 shown]
	v_dual_lshlrev_b32 v29, 2, v24 :: v_dual_cndmask_b32 v1, v1, v25, vcc_lo
	v_cmp_eq_u32_e32 vcc_lo, 0, v20
	v_mov_b32_e32 v24, 0x3f317218
	s_ashr_i32 s1, s0, 31
	s_ashr_i32 s25, s24, 31
	v_dual_mov_b32 v1, 0 :: v_dual_lshlrev_b32 v30, 2, v1
	s_bfe_i64 s[4:5], s[22:23], 0x200000
	s_lshl_b64 s[6:7], s[6:7], 2
	s_lshl_b64 s[4:5], s[4:5], 2
	;; [unrolled: 1-line block ×3, first 2 shown]
	v_add_nc_u64_e32 v[20:21], s[8:9], v[0:1]
	v_add_nc_u64_e32 v[22:23], s[10:11], v[0:1]
	s_lshl_b64 s[8:9], s[16:17], 2
	s_lshl_b64 s[10:11], s[0:1], 2
	s_mov_b32 s1, 0x3e9b6dac
	s_branch .LBB0_14
.LBB0_13:                               ;   in Loop: Header=BB0_14 Depth=1
	s_wait_xcnt 0x0
	s_or_b32 exec_lo, exec_lo, s0
	v_add_nc_u64_e32 v[18:19], s[4:5], v[18:19]
	v_add_nc_u64_e32 v[14:15], s[6:7], v[14:15]
	;; [unrolled: 1-line block ×5, first 2 shown]
	s_add_nc_u64 s[34:35], s[34:35], -1
	s_delay_alu instid0(SALU_CYCLE_1)
	s_cmp_eq_u64 s[34:35], 0
	s_cbranch_scc1 .LBB0_18
.LBB0_14:                               ; =>This Inner Loop Header: Depth=1
	global_load_b32 v1, v[14:15], off
	s_mov_b32 s3, exec_lo
	s_wait_loadcnt 0x0
	s_wait_xcnt 0x0
	v_cmpx_ge_f32_e32 0x41a00000, v1
	s_cbranch_execz .LBB0_16
; %bb.15:                               ;   in Loop: Header=BB0_14 Depth=1
	s_wait_dscnt 0x0
	v_mul_f32_e32 v25, 0x3fb8aa3b, v1
	v_cmp_ngt_f32_e64 s0, 0xc2ce8ed0, v1
	s_delay_alu instid0(VALU_DEP_2) | instskip(SKIP_1) | instid1(VALU_DEP_1)
	v_rndne_f32_e32 v31, v25
	v_fma_f32 v32, 0x3fb8aa3b, v1, -v25
	v_dual_sub_f32 v25, v25, v31 :: v_dual_fmac_f32 v32, 0x32a5705f, v1
	v_cvt_i32_f32_e32 v31, v31
	s_delay_alu instid0(VALU_DEP_2) | instskip(NEXT) | instid1(VALU_DEP_1)
	v_add_f32_e32 v25, v25, v32
	v_exp_f32_e32 v25, v25
	v_nop
	s_delay_alu instid0(TRANS32_DEP_1) | instskip(NEXT) | instid1(VALU_DEP_1)
	v_ldexp_f32 v25, v25, v31
	v_cndmask_b32_e64 v25, 0, v25, s0
	v_cmp_nlt_f32_e64 s0, 0x42b17218, v1
	s_delay_alu instid0(VALU_DEP_1) | instskip(NEXT) | instid1(VALU_DEP_1)
	v_cndmask_b32_e64 v31, 0x7f800000, v25, s0
	v_add_f32_e32 v1, 1.0, v31
	s_delay_alu instid0(VALU_DEP_1) | instskip(NEXT) | instid1(VALU_DEP_1)
	v_cvt_f64_f32_e32 v[32:33], v1
	v_frexp_exp_i32_f64_e32 v25, v[32:33]
	v_frexp_mant_f32_e32 v32, v1
	s_delay_alu instid0(VALU_DEP_1) | instskip(SKIP_1) | instid1(VALU_DEP_1)
	v_cmp_gt_f32_e64 s0, 0x3f2aaaab, v32
	v_add_f32_e32 v32, -1.0, v1
	v_dual_sub_f32 v34, v32, v1 :: v_dual_sub_f32 v32, v31, v32
	s_delay_alu instid0(VALU_DEP_1) | instskip(NEXT) | instid1(VALU_DEP_4)
	v_add_f32_e32 v34, 1.0, v34
	v_subrev_co_ci_u32_e64 v25, null, 0, v25, s0
	v_cmp_neq_f32_e64 s0, 0x7f800000, v31
	s_delay_alu instid0(VALU_DEP_2) | instskip(NEXT) | instid1(VALU_DEP_1)
	v_sub_nc_u32_e32 v33, 0, v25
	v_ldexp_f32 v1, v1, v33
	s_delay_alu instid0(VALU_DEP_1) | instskip(NEXT) | instid1(VALU_DEP_1)
	v_dual_add_f32 v35, 1.0, v1 :: v_dual_add_f32 v32, v32, v34
	v_dual_add_f32 v34, -1.0, v35 :: v_dual_add_f32 v37, -1.0, v1
	s_delay_alu instid0(VALU_DEP_2) | instskip(NEXT) | instid1(VALU_DEP_2)
	v_ldexp_f32 v32, v32, v33
	v_sub_f32_e32 v33, v1, v34
	s_delay_alu instid0(VALU_DEP_1) | instskip(NEXT) | instid1(VALU_DEP_1)
	v_add_f32_e32 v36, v32, v33
	v_dual_add_f32 v34, 1.0, v37 :: v_dual_add_f32 v38, v35, v36
	s_delay_alu instid0(VALU_DEP_1) | instskip(NEXT) | instid1(VALU_DEP_2)
	v_sub_f32_e32 v1, v1, v34
	v_rcp_f32_e32 v39, v38
	s_delay_alu instid0(VALU_DEP_1) | instskip(NEXT) | instid1(VALU_DEP_1)
	v_dual_add_f32 v1, v32, v1 :: v_dual_sub_f32 v32, v35, v38
	v_dual_add_f32 v33, v37, v1 :: v_dual_add_f32 v41, v36, v32
	s_delay_alu instid0(TRANS32_DEP_1) | instid1(VALU_DEP_1)
	v_mul_f32_e32 v40, v33, v39
	s_delay_alu instid0(VALU_DEP_1) | instskip(NEXT) | instid1(VALU_DEP_1)
	v_dual_sub_f32 v42, v37, v33 :: v_dual_mul_f32 v34, v38, v40
	v_add_f32_e32 v1, v1, v42
	s_delay_alu instid0(VALU_DEP_2) | instskip(NEXT) | instid1(VALU_DEP_1)
	v_fma_f32 v36, v40, v38, -v34
	v_fmac_f32_e32 v36, v40, v41
	s_delay_alu instid0(VALU_DEP_1) | instskip(NEXT) | instid1(VALU_DEP_1)
	v_add_f32_e32 v32, v34, v36
	v_dual_sub_f32 v35, v33, v32 :: v_dual_mov_b32 v37, v32
	s_delay_alu instid0(VALU_DEP_1) | instskip(NEXT) | instid1(VALU_DEP_1)
	v_pk_add_f32 v[32:33], v[32:33], v[34:35] neg_lo:[0,1] neg_hi:[0,1]
	v_pk_add_f32 v[32:33], v[32:33], v[36:37] neg_lo:[0,1] neg_hi:[0,1]
	s_delay_alu instid0(VALU_DEP_1) | instskip(NEXT) | instid1(VALU_DEP_1)
	v_add_f32_e32 v1, v1, v33
	v_add_f32_e32 v1, v32, v1
	s_delay_alu instid0(VALU_DEP_1) | instskip(NEXT) | instid1(VALU_DEP_1)
	v_add_f32_e32 v33, v35, v1
	v_mul_f32_e32 v42, v39, v33
	s_delay_alu instid0(VALU_DEP_1) | instskip(NEXT) | instid1(VALU_DEP_1)
	v_mul_f32_e32 v36, v38, v42
	v_fma_f32 v34, v42, v38, -v36
	s_delay_alu instid0(VALU_DEP_1) | instskip(NEXT) | instid1(VALU_DEP_1)
	v_fmac_f32_e32 v34, v42, v41
	v_dual_add_f32 v32, v36, v34 :: v_dual_sub_f32 v38, v35, v33
	s_delay_alu instid0(VALU_DEP_1) | instskip(NEXT) | instid1(VALU_DEP_2)
	v_dual_mov_b32 v35, v32 :: v_dual_sub_f32 v37, v33, v32
	v_add_f32_e32 v1, v1, v38
	v_add_f32_e32 v38, v40, v42
	s_delay_alu instid0(VALU_DEP_3) | instskip(NEXT) | instid1(VALU_DEP_1)
	v_pk_add_f32 v[32:33], v[32:33], v[36:37] neg_lo:[0,1] neg_hi:[0,1]
	v_pk_add_f32 v[32:33], v[32:33], v[34:35] neg_lo:[0,1] neg_hi:[0,1]
	s_delay_alu instid0(VALU_DEP_1) | instskip(NEXT) | instid1(VALU_DEP_1)
	v_add_f32_e32 v1, v1, v33
	v_dual_add_f32 v1, v32, v1 :: v_dual_sub_f32 v32, v38, v40
	s_delay_alu instid0(VALU_DEP_1) | instskip(NEXT) | instid1(VALU_DEP_1)
	v_dual_sub_f32 v32, v42, v32 :: v_dual_add_f32 v1, v37, v1
	v_mul_f32_e32 v1, v39, v1
	s_delay_alu instid0(VALU_DEP_1) | instskip(SKIP_1) | instid1(VALU_DEP_2)
	v_add_f32_e32 v1, v32, v1
	v_cvt_f32_i32_e32 v32, v25
	v_add_f32_e32 v39, v38, v1
	s_delay_alu instid0(VALU_DEP_1) | instskip(SKIP_1) | instid1(VALU_DEP_2)
	v_mul_f32_e32 v34, v39, v39
	v_ldexp_f32 v37, v39, 1
	v_fmaak_f32 v35, s1, v34, 0x3ecc95a3
	v_mul_f32_e32 v33, v39, v34
	s_delay_alu instid0(VALU_DEP_2) | instskip(NEXT) | instid1(VALU_DEP_1)
	v_fmaak_f32 v25, v34, v35, 0x3f2aaada
	v_pk_mul_f32 v[34:35], v[32:33], v[24:25]
	v_sub_f32_e32 v25, v39, v38
	s_delay_alu instid0(VALU_DEP_2) | instskip(SKIP_1) | instid1(VALU_DEP_2)
	v_fma_f32 v36, 0x3f317218, v32, -v34
	v_mov_b32_e32 v38, v34
	v_dual_fmac_f32 v36, 0xb102e308, v32 :: v_dual_sub_f32 v1, v1, v25
	s_delay_alu instid0(VALU_DEP_1) | instskip(NEXT) | instid1(VALU_DEP_1)
	v_pk_add_f32 v[32:33], v[34:35], v[36:37]
	v_dual_sub_f32 v25, v33, v37 :: v_dual_mov_b32 v46, v33
	s_delay_alu instid0(VALU_DEP_1) | instskip(NEXT) | instid1(VALU_DEP_4)
	v_dual_mov_b32 v37, v32 :: v_dual_sub_f32 v25, v35, v25
	v_ldexp_f32 v1, v1, 1
	v_pk_add_f32 v[34:35], v[32:33], v[34:35] neg_lo:[0,1] neg_hi:[0,1]
	s_delay_alu instid0(VALU_DEP_2) | instskip(NEXT) | instid1(VALU_DEP_1)
	v_add_f32_e32 v39, v1, v25
	v_pk_add_f32 v[40:41], v[32:33], v[38:39]
	s_delay_alu instid0(VALU_DEP_1) | instskip(NEXT) | instid1(VALU_DEP_1)
	v_mov_b32_e32 v35, v41
	v_pk_add_f32 v[42:43], v[36:37], v[34:35]
	v_mov_b32_e32 v42, v41
	v_pk_add_f32 v[34:35], v[36:37], v[34:35] neg_lo:[0,1] neg_hi:[0,1]
	s_delay_alu instid0(VALU_DEP_3) | instskip(NEXT) | instid1(VALU_DEP_1)
	v_mov_b32_e32 v38, v43
	v_pk_add_f32 v[44:45], v[38:39], v[32:33] neg_lo:[0,1] neg_hi:[0,1]
	s_delay_alu instid0(VALU_DEP_1) | instskip(SKIP_1) | instid1(VALU_DEP_2)
	v_dual_mov_b32 v33, v32 :: v_dual_mov_b32 v47, v44
	v_dual_mov_b32 v32, v39 :: v_dual_mov_b32 v1, v44
	v_pk_add_f32 v[44:45], v[42:43], v[46:47] neg_lo:[0,1] neg_hi:[0,1]
	s_delay_alu instid0(VALU_DEP_2) | instskip(SKIP_1) | instid1(VALU_DEP_3)
	v_pk_add_f32 v[36:37], v[40:41], v[0:1] neg_lo:[0,1] neg_hi:[0,1]
	v_mov_b32_e32 v36, v34
	v_pk_add_f32 v[32:33], v[32:33], v[44:45] neg_lo:[0,1] neg_hi:[0,1]
	s_delay_alu instid0(VALU_DEP_1) | instskip(NEXT) | instid1(VALU_DEP_1)
	v_pk_add_f32 v[36:37], v[36:37], v[32:33]
	v_mov_b32_e32 v40, v37
	s_delay_alu instid0(VALU_DEP_1) | instskip(NEXT) | instid1(VALU_DEP_1)
	v_pk_add_f32 v[40:41], v[36:37], v[40:41]
	v_pk_add_f32 v[38:39], v[38:39], v[40:41]
	s_delay_alu instid0(VALU_DEP_1) | instskip(NEXT) | instid1(VALU_DEP_1)
	v_dual_mov_b32 v35, v43 :: v_dual_mov_b32 v37, v38
	v_pk_add_f32 v[42:43], v[36:37], v[34:35] neg_lo:[0,1] neg_hi:[0,1]
	s_delay_alu instid0(VALU_DEP_1) | instskip(NEXT) | instid1(VALU_DEP_1)
	v_sub_f32_e32 v1, v36, v42
	v_dual_mov_b32 v33, v40 :: v_dual_sub_f32 v1, v34, v1
	s_delay_alu instid0(VALU_DEP_1) | instskip(NEXT) | instid1(VALU_DEP_1)
	v_pk_add_f32 v[32:33], v[32:33], v[42:43] neg_lo:[0,1] neg_hi:[0,1]
	v_add_f32_e32 v1, v32, v1
	s_delay_alu instid0(VALU_DEP_1) | instskip(NEXT) | instid1(VALU_DEP_1)
	v_add_f32_e32 v1, v1, v33
	v_add_f32_e32 v1, v38, v1
	s_delay_alu instid0(VALU_DEP_1) | instskip(SKIP_1) | instid1(VALU_DEP_1)
	v_cndmask_b32_e64 v1, 0x7f800000, v1, s0
	v_cmp_gt_f32_e64 s0, 0x33800000, v31
	v_cndmask_b32_e64 v1, v1, v31, s0
.LBB0_16:                               ;   in Loop: Header=BB0_14 Depth=1
	s_or_b32 exec_lo, exec_lo, s3
	s_wait_dscnt 0x0
	global_load_b32 v25, v[16:17], off
	v_add_nc_u64_e32 v[32:33], v[20:21], v[10:11]
	v_add_nc_u64_e32 v[36:37], v[22:23], v[10:11]
	global_load_b32 v31, v[12:13], off
	s_clause 0x1
	global_load_b32 v34, v[32:33], off
	global_load_b32 v35, v[32:33], off offset:128
	global_load_b32 v40, v[36:37], off
	s_clause 0x1
	global_load_b32 v38, v[32:33], off offset:256
	global_load_b32 v39, v[32:33], off offset:384
	s_clause 0x2
	global_load_b32 v41, v[36:37], off offset:128
	global_load_b32 v42, v[36:37], off offset:256
	;; [unrolled: 1-line block ×3, first 2 shown]
	s_wait_loadcnt 0x9
	v_mul_f32_e32 v25, v1, v25
	s_wait_xcnt 0x3
	s_delay_alu instid0(VALU_DEP_1) | instskip(NEXT) | instid1(VALU_DEP_1)
	v_mul_f32_e32 v32, 0x3fb8aa3b, v25
	v_fma_f32 v33, 0x3fb8aa3b, v25, -v32
	s_wait_xcnt 0x0
	v_rndne_f32_e32 v36, v32
	s_delay_alu instid0(VALU_DEP_1) | instskip(SKIP_1) | instid1(VALU_DEP_2)
	v_dual_sub_f32 v32, v32, v36 :: v_dual_fmac_f32 v33, 0x32a5705f, v25
	v_cmp_ngt_f32_e64 s0, 0xc2ce8ed0, v25
	v_add_f32_e32 v32, v32, v33
	v_cvt_i32_f32_e32 v33, v36
	s_delay_alu instid0(VALU_DEP_2) | instskip(SKIP_1) | instid1(TRANS32_DEP_1)
	v_exp_f32_e32 v32, v32
	v_nop
	v_ldexp_f32 v33, v32, v33
	s_wait_loadcnt 0x8
	s_delay_alu instid0(VALU_DEP_1) | instskip(SKIP_2) | instid1(VALU_DEP_2)
	v_dual_mul_f32 v32, v1, v31 :: v_dual_cndmask_b32 v1, 0, v33, s0
	v_cmp_nlt_f32_e64 s0, 0x42b17218, v25
	s_wait_loadcnt 0x6
	v_pk_mul_f32 v[34:35], v[32:33], v[34:35] op_sel_hi:[0,1]
	s_wait_loadcnt 0x3
	v_pk_mul_f32 v[32:33], v[32:33], v[38:39] op_sel_hi:[0,1]
	v_cndmask_b32_e64 v36, 0x7f800000, v1, s0
	s_delay_alu instid0(VALU_DEP_1) | instskip(NEXT) | instid1(VALU_DEP_3)
	v_pk_fma_f32 v[8:9], v[36:37], v[8:9], v[34:35] op_sel_hi:[0,1,1]
	v_pk_fma_f32 v[6:7], v[36:37], v[6:7], v[32:33] op_sel_hi:[0,1,1]
	s_delay_alu instid0(VALU_DEP_2) | instskip(SKIP_1) | instid1(VALU_DEP_1)
	v_fma_f32 v1, v40, v8, 0
	s_wait_loadcnt 0x2
	v_fmac_f32_e32 v1, v41, v9
	s_wait_loadcnt 0x1
	s_delay_alu instid0(VALU_DEP_1) | instskip(SKIP_1) | instid1(VALU_DEP_1)
	v_fmac_f32_e32 v1, v42, v6
	s_wait_loadcnt 0x0
	v_fmac_f32_e32 v1, v43, v7
	ds_bpermute_b32 v25, v26, v1
	s_wait_dscnt 0x0
	v_add_f32_e32 v1, v1, v25
	ds_bpermute_b32 v25, v27, v1
	s_wait_dscnt 0x0
	v_add_f32_e32 v1, v1, v25
	;; [unrolled: 3-line block ×4, first 2 shown]
	ds_bpermute_b32 v25, v30, v1
	s_and_saveexec_b32 s0, vcc_lo
	s_cbranch_execz .LBB0_13
; %bb.17:                               ;   in Loop: Header=BB0_14 Depth=1
	s_wait_dscnt 0x0
	v_add_f32_e32 v1, v1, v25
	global_store_b32 v[18:19], v1, off
	s_branch .LBB0_13
.LBB0_18:
	s_mul_i32 s0, s37, s2
	s_add_nc_u64 s[2:3], s[18:19], s[20:21]
	s_ashr_i32 s1, s0, 31
	v_mov_b32_e32 v1, 0
	s_add_nc_u64 s[0:1], s[2:3], s[0:1]
	s_delay_alu instid0(SALU_CYCLE_1) | instskip(NEXT) | instid1(VALU_DEP_1)
	v_add_nc_u64_e32 v[2:3], s[0:1], v[2:3]
	v_add_nc_u64_e32 v[2:3], v[2:3], v[4:5]
	s_delay_alu instid0(VALU_DEP_1)
	v_add_nc_u64_e32 v[0:1], v[2:3], v[0:1]
	s_wait_loadcnt 0x3
	global_store_b32 v[0:1], v8, off
	s_wait_loadcnt 0x2
	global_store_b32 v[0:1], v9, off offset:128
	s_wait_loadcnt 0x1
	global_store_b32 v[0:1], v6, off offset:256
	;; [unrolled: 2-line block ×3, first 2 shown]
	s_endpgm
.LBB0_19:
                                        ; implicit-def: $sgpr4_sgpr5
	s_load_b96 s[28:30], s[0:1], 0x60
	s_branch .LBB0_7
	.section	.rodata,"a",@progbits
	.p2align	6, 0x0
	.amdhsa_kernel _Z18ssm_scan_f32_groupILi4ELi128EEvPKfS1_S1_S1_S1_S1_PKiPfiiiiiiiiiiilllll
		.amdhsa_group_segment_fixed_size 0
		.amdhsa_private_segment_fixed_size 0
		.amdhsa_kernarg_size 152
		.amdhsa_user_sgpr_count 2
		.amdhsa_user_sgpr_dispatch_ptr 0
		.amdhsa_user_sgpr_queue_ptr 0
		.amdhsa_user_sgpr_kernarg_segment_ptr 1
		.amdhsa_user_sgpr_dispatch_id 0
		.amdhsa_user_sgpr_kernarg_preload_length 0
		.amdhsa_user_sgpr_kernarg_preload_offset 0
		.amdhsa_user_sgpr_private_segment_size 0
		.amdhsa_wavefront_size32 1
		.amdhsa_uses_dynamic_stack 0
		.amdhsa_enable_private_segment 0
		.amdhsa_system_sgpr_workgroup_id_x 1
		.amdhsa_system_sgpr_workgroup_id_y 1
		.amdhsa_system_sgpr_workgroup_id_z 0
		.amdhsa_system_sgpr_workgroup_info 0
		.amdhsa_system_vgpr_workitem_id 0
		.amdhsa_next_free_vgpr 48
		.amdhsa_next_free_sgpr 54
		.amdhsa_named_barrier_count 0
		.amdhsa_reserve_vcc 1
		.amdhsa_float_round_mode_32 0
		.amdhsa_float_round_mode_16_64 0
		.amdhsa_float_denorm_mode_32 3
		.amdhsa_float_denorm_mode_16_64 3
		.amdhsa_fp16_overflow 0
		.amdhsa_memory_ordered 1
		.amdhsa_forward_progress 1
		.amdhsa_inst_pref_size 35
		.amdhsa_round_robin_scheduling 0
		.amdhsa_exception_fp_ieee_invalid_op 0
		.amdhsa_exception_fp_denorm_src 0
		.amdhsa_exception_fp_ieee_div_zero 0
		.amdhsa_exception_fp_ieee_overflow 0
		.amdhsa_exception_fp_ieee_underflow 0
		.amdhsa_exception_fp_ieee_inexact 0
		.amdhsa_exception_int_div_zero 0
	.end_amdhsa_kernel
	.section	.text._Z18ssm_scan_f32_groupILi4ELi128EEvPKfS1_S1_S1_S1_S1_PKiPfiiiiiiiiiiilllll,"axG",@progbits,_Z18ssm_scan_f32_groupILi4ELi128EEvPKfS1_S1_S1_S1_S1_PKiPfiiiiiiiiiiilllll,comdat
.Lfunc_end0:
	.size	_Z18ssm_scan_f32_groupILi4ELi128EEvPKfS1_S1_S1_S1_S1_PKiPfiiiiiiiiiiilllll, .Lfunc_end0-_Z18ssm_scan_f32_groupILi4ELi128EEvPKfS1_S1_S1_S1_S1_PKiPfiiiiiiiiiiilllll
                                        ; -- End function
	.set _Z18ssm_scan_f32_groupILi4ELi128EEvPKfS1_S1_S1_S1_S1_PKiPfiiiiiiiiiiilllll.num_vgpr, 48
	.set _Z18ssm_scan_f32_groupILi4ELi128EEvPKfS1_S1_S1_S1_S1_PKiPfiiiiiiiiiiilllll.num_agpr, 0
	.set _Z18ssm_scan_f32_groupILi4ELi128EEvPKfS1_S1_S1_S1_S1_PKiPfiiiiiiiiiiilllll.numbered_sgpr, 54
	.set _Z18ssm_scan_f32_groupILi4ELi128EEvPKfS1_S1_S1_S1_S1_PKiPfiiiiiiiiiiilllll.num_named_barrier, 0
	.set _Z18ssm_scan_f32_groupILi4ELi128EEvPKfS1_S1_S1_S1_S1_PKiPfiiiiiiiiiiilllll.private_seg_size, 0
	.set _Z18ssm_scan_f32_groupILi4ELi128EEvPKfS1_S1_S1_S1_S1_PKiPfiiiiiiiiiiilllll.uses_vcc, 1
	.set _Z18ssm_scan_f32_groupILi4ELi128EEvPKfS1_S1_S1_S1_S1_PKiPfiiiiiiiiiiilllll.uses_flat_scratch, 0
	.set _Z18ssm_scan_f32_groupILi4ELi128EEvPKfS1_S1_S1_S1_S1_PKiPfiiiiiiiiiiilllll.has_dyn_sized_stack, 0
	.set _Z18ssm_scan_f32_groupILi4ELi128EEvPKfS1_S1_S1_S1_S1_PKiPfiiiiiiiiiiilllll.has_recursion, 0
	.set _Z18ssm_scan_f32_groupILi4ELi128EEvPKfS1_S1_S1_S1_S1_PKiPfiiiiiiiiiiilllll.has_indirect_call, 0
	.section	.AMDGPU.csdata,"",@progbits
; Kernel info:
; codeLenInByte = 4460
; TotalNumSgprs: 56
; NumVgprs: 48
; ScratchSize: 0
; MemoryBound: 0
; FloatMode: 240
; IeeeMode: 1
; LDSByteSize: 0 bytes/workgroup (compile time only)
; SGPRBlocks: 0
; VGPRBlocks: 2
; NumSGPRsForWavesPerEU: 56
; NumVGPRsForWavesPerEU: 48
; NamedBarCnt: 0
; Occupancy: 16
; WaveLimiterHint : 1
; COMPUTE_PGM_RSRC2:SCRATCH_EN: 0
; COMPUTE_PGM_RSRC2:USER_SGPR: 2
; COMPUTE_PGM_RSRC2:TRAP_HANDLER: 0
; COMPUTE_PGM_RSRC2:TGID_X_EN: 1
; COMPUTE_PGM_RSRC2:TGID_Y_EN: 1
; COMPUTE_PGM_RSRC2:TGID_Z_EN: 0
; COMPUTE_PGM_RSRC2:TIDIG_COMP_CNT: 0
	.section	.text._Z18ssm_scan_f32_groupILi8ELi256EEvPKfS1_S1_S1_S1_S1_PKiPfiiiiiiiiiiilllll,"axG",@progbits,_Z18ssm_scan_f32_groupILi8ELi256EEvPKfS1_S1_S1_S1_S1_PKiPfiiiiiiiiiiilllll,comdat
	.protected	_Z18ssm_scan_f32_groupILi8ELi256EEvPKfS1_S1_S1_S1_S1_PKiPfiiiiiiiiiiilllll ; -- Begin function _Z18ssm_scan_f32_groupILi8ELi256EEvPKfS1_S1_S1_S1_S1_PKiPfiiiiiiiiiiilllll
	.globl	_Z18ssm_scan_f32_groupILi8ELi256EEvPKfS1_S1_S1_S1_S1_PKiPfiiiiiiiiiiilllll
	.p2align	8
	.type	_Z18ssm_scan_f32_groupILi8ELi256EEvPKfS1_S1_S1_S1_S1_PKiPfiiiiiiiiiiilllll,@function
_Z18ssm_scan_f32_groupILi8ELi256EEvPKfS1_S1_S1_S1_S1_PKiPfiiiiiiiiiiilllll: ; @_Z18ssm_scan_f32_groupILi8ELi256EEvPKfS1_S1_S1_S1_S1_PKiPfiiiiiiiiiiilllll
; %bb.0:
	s_bfe_u32 s2, ttmp6, 0x4000c
	s_load_b256 s[20:27], s[0:1], 0x70
	s_add_co_i32 s2, s2, 1
	s_and_b32 s3, ttmp6, 15
	s_mul_i32 s2, ttmp9, s2
	s_getreg_b32 s28, hwreg(HW_REG_IB_STS2, 6, 4)
	v_lshrrev_b32_e32 v1, 5, v0
	s_add_co_i32 s3, s3, s2
	s_load_b64 s[34:35], s[0:1], 0x90
	s_cmp_eq_u32 s28, 0
                                        ; implicit-def: $vgpr16_vgpr17
	v_mov_b32_e32 v2, 0
	s_cselect_b32 s2, ttmp9, s3
	s_mov_b32 s3, 0
	v_lshl_or_b32 v14, s2, 3, v1
	s_mov_b32 s2, exec_lo
	s_delay_alu instid0(VALU_DEP_1) | instskip(SKIP_1) | instid1(VALU_DEP_1)
	v_ashrrev_i32_e32 v15, 31, v14
	s_wait_kmcnt 0x0
	v_or_b32_e32 v3, s25, v15
	s_delay_alu instid0(VALU_DEP_1)
	v_cmpx_ne_u64_e32 0, v[2:3]
	s_xor_b32 s8, exec_lo, s2
	s_cbranch_execz .LBB1_2
; %bb.1:
	s_ashr_i32 s4, s25, 31
	v_dual_mov_b32 v9, v2 :: v_dual_ashrrev_i32 v4, 31, v15
	s_mov_b32 s5, s4
	v_dual_mov_b32 v19, v2 :: v_dual_mov_b32 v3, v2
	s_add_nc_u64 s[6:7], s[24:25], s[4:5]
	s_delay_alu instid0(VALU_DEP_2) | instskip(SKIP_1) | instid1(SALU_CYCLE_1)
	v_mov_b32_e32 v5, v4
	s_xor_b64 s[6:7], s[6:7], s[4:5]
	s_cvt_f32_u32 s2, s6
	s_cvt_f32_u32 s5, s7
	s_sub_nc_u64 s[12:13], 0, s[6:7]
	v_add_nc_u64_e32 v[6:7], v[14:15], v[4:5]
	v_mov_b32_e32 v11, v2
	s_fmamk_f32 s2, s5, 0x4f800000, s2
	s_delay_alu instid0(SALU_CYCLE_3) | instskip(NEXT) | instid1(VALU_DEP_2)
	v_s_rcp_f32 s2, s2
	v_xor_b32_e32 v8, v6, v4
	s_delay_alu instid0(VALU_DEP_3) | instskip(SKIP_1) | instid1(TRANS32_DEP_1)
	v_xor_b32_e32 v10, v7, v4
	v_xor_b32_e32 v4, s4, v4
	s_mul_f32 s2, s2, 0x5f7ffffc
	s_delay_alu instid0(SALU_CYCLE_3) | instskip(NEXT) | instid1(SALU_CYCLE_3)
	s_mul_f32 s5, s2, 0x2f800000
	s_trunc_f32 s5, s5
	s_delay_alu instid0(SALU_CYCLE_3) | instskip(SKIP_1) | instid1(SALU_CYCLE_2)
	s_fmamk_f32 s2, s5, 0xcf800000, s2
	s_cvt_u32_f32 s11, s5
	s_cvt_u32_f32 s10, s2
	s_delay_alu instid0(SALU_CYCLE_3) | instskip(NEXT) | instid1(SALU_CYCLE_1)
	s_mul_u64 s[14:15], s[12:13], s[10:11]
	s_mul_hi_u32 s17, s10, s15
	s_mul_i32 s16, s10, s15
	s_mul_hi_u32 s2, s10, s14
	s_mul_i32 s9, s11, s14
	s_add_nc_u64 s[16:17], s[2:3], s[16:17]
	s_mul_hi_u32 s5, s11, s14
	s_mul_hi_u32 s18, s11, s15
	s_add_co_u32 s2, s16, s9
	s_add_co_ci_u32 s2, s17, s5
	s_mul_i32 s14, s11, s15
	s_add_co_ci_u32 s15, s18, 0
	s_delay_alu instid0(SALU_CYCLE_1) | instskip(NEXT) | instid1(SALU_CYCLE_1)
	s_add_nc_u64 s[14:15], s[2:3], s[14:15]
	s_add_co_u32 s10, s10, s14
	s_cselect_b32 s2, -1, 0
	s_delay_alu instid0(SALU_CYCLE_1) | instskip(SKIP_1) | instid1(SALU_CYCLE_1)
	s_cmp_lg_u32 s2, 0
	s_add_co_ci_u32 s11, s11, s15
	s_mul_u64 s[12:13], s[12:13], s[10:11]
	s_delay_alu instid0(SALU_CYCLE_1)
	s_mul_hi_u32 s15, s10, s13
	s_mul_i32 s14, s10, s13
	s_mul_hi_u32 s2, s10, s12
	s_mul_i32 s9, s11, s12
	s_add_nc_u64 s[14:15], s[2:3], s[14:15]
	s_mul_hi_u32 s5, s11, s12
	s_mul_hi_u32 s16, s11, s13
	s_add_co_u32 s2, s14, s9
	s_add_co_ci_u32 s2, s15, s5
	s_mul_i32 s12, s11, s13
	s_add_co_ci_u32 s13, s16, 0
	s_delay_alu instid0(SALU_CYCLE_1) | instskip(NEXT) | instid1(SALU_CYCLE_1)
	s_add_nc_u64 s[12:13], s[2:3], s[12:13]
	s_add_co_u32 s10, s10, s12
	s_cselect_b32 s2, -1, 0
	v_mul_hi_u32 v18, v8, s10
	s_cmp_lg_u32 s2, 0
	s_add_co_ci_u32 s2, s11, s13
	s_mov_b64 s[12:13], 0xffffffff
	v_mul_u64_e32 v[12:13], s[2:3], v[8:9]
	s_and_b64 s[12:13], s[10:11], s[12:13]
	v_mul_u64_e32 v[16:17], s[2:3], v[10:11]
	v_mul_u64_e32 v[6:7], s[12:13], v[10:11]
	s_delay_alu instid0(VALU_DEP_3) | instskip(NEXT) | instid1(VALU_DEP_1)
	v_add_nc_u64_e32 v[12:13], v[18:19], v[12:13]
	v_add_co_u32 v1, vcc_lo, v12, v6
	s_delay_alu instid0(VALU_DEP_2) | instskip(SKIP_1) | instid1(VALU_DEP_1)
	v_add_co_ci_u32_e32 v2, vcc_lo, v13, v7, vcc_lo
	v_add_co_ci_u32_e32 v17, vcc_lo, 0, v17, vcc_lo
	v_add_nc_u64_e32 v[2:3], v[2:3], v[16:17]
	s_delay_alu instid0(VALU_DEP_1) | instskip(NEXT) | instid1(VALU_DEP_1)
	v_mul_u64_e32 v[6:7], s[6:7], v[2:3]
	v_sub_nc_u32_e32 v1, v10, v7
	s_delay_alu instid0(VALU_DEP_2) | instskip(NEXT) | instid1(VALU_DEP_1)
	v_sub_co_u32 v5, vcc_lo, v8, v6
	v_sub_co_ci_u32_e64 v10, null, v10, v7, vcc_lo
	s_delay_alu instid0(VALU_DEP_3) | instskip(NEXT) | instid1(VALU_DEP_3)
	v_subrev_co_ci_u32_e64 v1, null, s7, v1, vcc_lo
	v_sub_co_u32 v6, s2, v5, s6
	v_add_nc_u64_e32 v[8:9], 1, v[2:3]
	s_delay_alu instid0(VALU_DEP_3) | instskip(NEXT) | instid1(VALU_DEP_3)
	v_subrev_co_ci_u32_e64 v1, null, 0, v1, s2
	v_cmp_le_u32_e32 vcc_lo, s6, v6
	v_cndmask_b32_e64 v6, 0, -1, vcc_lo
	s_delay_alu instid0(VALU_DEP_3)
	v_cmp_le_u32_e32 vcc_lo, s7, v1
	v_cndmask_b32_e64 v7, 0, -1, vcc_lo
	v_cmp_le_u32_e32 vcc_lo, s6, v5
	v_cndmask_b32_e64 v5, 0, -1, vcc_lo
	;; [unrolled: 2-line block ×3, first 2 shown]
	v_cmp_eq_u32_e32 vcc_lo, s7, v1
	v_cndmask_b32_e32 v1, v7, v6, vcc_lo
	v_cmp_eq_u32_e32 vcc_lo, s7, v10
	v_add_nc_u64_e32 v[6:7], 2, v[2:3]
	v_cndmask_b32_e32 v5, v11, v5, vcc_lo
	s_delay_alu instid0(VALU_DEP_4) | instskip(NEXT) | instid1(VALU_DEP_2)
	v_cmp_ne_u32_e32 vcc_lo, 0, v1
	v_cmp_ne_u32_e64 s2, 0, v5
	s_delay_alu instid0(VALU_DEP_4) | instskip(NEXT) | instid1(VALU_DEP_1)
	v_dual_cndmask_b32 v1, v9, v7, vcc_lo :: v_dual_cndmask_b32 v5, v8, v6, vcc_lo
	v_cndmask_b32_e64 v1, v3, v1, s2
	s_delay_alu instid0(VALU_DEP_2) | instskip(NEXT) | instid1(VALU_DEP_2)
	v_dual_cndmask_b32 v2, v2, v5, s2 :: v_dual_mov_b32 v5, v4
	v_xor_b32_e32 v3, v1, v4
	s_delay_alu instid0(VALU_DEP_2) | instskip(NEXT) | instid1(VALU_DEP_1)
	v_xor_b32_e32 v2, v2, v4
	v_sub_nc_u64_e32 v[16:17], v[2:3], v[4:5]
.LBB1_2:
	s_and_not1_saveexec_b32 s2, s8
	s_cbranch_execz .LBB1_4
; %bb.3:
	v_cvt_f32_u32_e32 v1, s24
	s_sub_co_i32 s3, 0, s24
	s_delay_alu instid0(VALU_DEP_1) | instskip(SKIP_1) | instid1(TRANS32_DEP_1)
	v_rcp_iflag_f32_e32 v1, v1
	v_nop
	v_mul_f32_e32 v1, 0x4f7ffffe, v1
	s_delay_alu instid0(VALU_DEP_1) | instskip(NEXT) | instid1(VALU_DEP_1)
	v_cvt_u32_f32_e32 v1, v1
	v_mul_lo_u32 v2, s3, v1
	s_delay_alu instid0(VALU_DEP_1) | instskip(NEXT) | instid1(VALU_DEP_1)
	v_mul_hi_u32 v2, v1, v2
	v_add_nc_u32_e32 v1, v1, v2
	s_delay_alu instid0(VALU_DEP_1) | instskip(NEXT) | instid1(VALU_DEP_1)
	v_mul_hi_u32 v1, v14, v1
	v_mul_lo_u32 v2, v1, s24
	s_delay_alu instid0(VALU_DEP_1) | instskip(NEXT) | instid1(VALU_DEP_1)
	v_dual_add_nc_u32 v3, 1, v1 :: v_dual_sub_nc_u32 v2, v14, v2
	v_subrev_nc_u32_e32 v4, s24, v2
	v_cmp_le_u32_e32 vcc_lo, s24, v2
	s_delay_alu instid0(VALU_DEP_2) | instskip(NEXT) | instid1(VALU_DEP_1)
	v_dual_cndmask_b32 v2, v2, v4 :: v_dual_cndmask_b32 v1, v1, v3
	v_cmp_le_u32_e32 vcc_lo, s24, v2
	s_delay_alu instid0(VALU_DEP_2) | instskip(NEXT) | instid1(VALU_DEP_1)
	v_add_nc_u32_e32 v3, 1, v1
	v_cndmask_b32_e32 v16, v1, v3, vcc_lo
.LBB1_4:
	s_or_b32 exec_lo, exec_lo, s2
	s_load_b512 s[4:19], s[0:1], 0x0
	s_bfe_u32 s2, ttmp6, 0x40010
	s_bfe_u32 s3, ttmp6, 0x40004
	s_add_co_i32 s2, s2, 1
	s_load_b256 s[36:43], s[0:1], 0x40
	s_mul_i32 s2, ttmp7, s2
	v_mul_lo_u32 v1, v16, s24
	s_add_co_i32 s3, s3, s2
	s_cmp_eq_u32 s28, 0
	v_and_b32_e32 v24, 31, v0
	s_cselect_b32 s2, ttmp7, s3
	s_delay_alu instid0(SALU_CYCLE_1) | instskip(NEXT) | instid1(SALU_CYCLE_1)
	s_ashr_i32 s3, s2, 31
	s_lshl_b64 s[28:29], s[2:3], 2
	s_delay_alu instid0(VALU_DEP_1) | instskip(SKIP_4) | instid1(VALU_DEP_1)
	v_lshlrev_b32_e32 v0, 2, v24
	s_wait_kmcnt 0x0
	s_add_nc_u64 s[16:17], s[16:17], s[28:29]
	s_load_b32 s16, s[16:17], 0x0
	v_mul_lo_u32 v2, s36, v16
	v_dual_sub_nc_u32 v1, v14, v1 :: v_dual_ashrrev_i32 v3, 31, v2
	s_delay_alu instid0(VALU_DEP_1) | instskip(NEXT) | instid1(VALU_DEP_1)
	v_dual_mov_b32 v1, 0 :: v_dual_lshlrev_b32 v4, 10, v1
	v_ashrrev_i32_e32 v5, 31, v4
	s_wait_kmcnt 0x0
	s_mul_i32 s16, s16, s37
	s_delay_alu instid0(SALU_CYCLE_1) | instskip(NEXT) | instid1(SALU_CYCLE_1)
	s_ashr_i32 s17, s16, 31
	s_add_nc_u64 s[4:5], s[4:5], s[16:17]
	s_delay_alu instid0(SALU_CYCLE_1) | instskip(SKIP_1) | instid1(VALU_DEP_2)
	v_add_nc_u64_e32 v[6:7], s[4:5], v[2:3]
	v_cmp_lt_i64_e64 s4, s[34:35], 1
	v_add_nc_u64_e32 v[6:7], v[6:7], v[4:5]
	s_and_b32 vcc_lo, exec_lo, s4
	s_delay_alu instid0(VALU_DEP_1)
	v_add_nc_u64_e32 v[18:19], v[6:7], v[0:1]
	s_clause 0x7
	global_load_b32 v12, v[18:19], off
	global_load_b32 v13, v[18:19], off offset:128
	global_load_b32 v10, v[18:19], off offset:256
	;; [unrolled: 1-line block ×7, first 2 shown]
	s_cbranch_vccnz .LBB1_18
; %bb.5:
	s_or_b64 s[4:5], s[22:23], s[26:27]
	s_delay_alu instid0(SALU_CYCLE_1) | instskip(NEXT) | instid1(SALU_CYCLE_1)
	s_and_b64 s[4:5], s[4:5], 0xffffffff00000000
	s_cmp_lg_u64 s[4:5], 0
	s_cbranch_scc0 .LBB1_19
; %bb.6:
	s_ashr_i32 s4, s27, 31
	s_delay_alu instid0(SALU_CYCLE_1) | instskip(NEXT) | instid1(SALU_CYCLE_1)
	s_mov_b32 s5, s4
	s_add_nc_u64 s[16:17], s[26:27], s[4:5]
	s_delay_alu instid0(SALU_CYCLE_1) | instskip(NEXT) | instid1(SALU_CYCLE_1)
	s_xor_b64 s[28:29], s[16:17], s[4:5]
	s_cvt_f32_u32 s16, s28
	s_cvt_f32_u32 s17, s29
	s_sub_nc_u64 s[44:45], 0, s[28:29]
	s_delay_alu instid0(SALU_CYCLE_2) | instskip(NEXT) | instid1(SALU_CYCLE_3)
	s_fmamk_f32 s16, s17, 0x4f800000, s16
	v_s_rcp_f32 s16, s16
	s_delay_alu instid0(TRANS32_DEP_1) | instskip(NEXT) | instid1(SALU_CYCLE_3)
	s_mul_f32 s16, s16, 0x5f7ffffc
	s_mul_f32 s17, s16, 0x2f800000
	s_delay_alu instid0(SALU_CYCLE_3) | instskip(NEXT) | instid1(SALU_CYCLE_3)
	s_trunc_f32 s17, s17
	s_fmamk_f32 s16, s17, 0xcf800000, s16
	s_cvt_u32_f32 s31, s17
	s_mov_b32 s17, 0
	s_delay_alu instid0(SALU_CYCLE_1) | instskip(NEXT) | instid1(SALU_CYCLE_3)
	s_cvt_u32_f32 s30, s16
	s_mul_u64 s[46:47], s[44:45], s[30:31]
	s_delay_alu instid0(SALU_CYCLE_1)
	s_mul_hi_u32 s49, s30, s47
	s_mul_i32 s48, s30, s47
	s_mul_hi_u32 s16, s30, s46
	s_mul_i32 s33, s31, s46
	s_add_nc_u64 s[48:49], s[16:17], s[48:49]
	s_mul_hi_u32 s27, s31, s46
	s_mul_hi_u32 s36, s31, s47
	s_add_co_u32 s16, s48, s33
	s_add_co_ci_u32 s16, s49, s27
	s_mul_i32 s46, s31, s47
	s_add_co_ci_u32 s47, s36, 0
	s_delay_alu instid0(SALU_CYCLE_1) | instskip(NEXT) | instid1(SALU_CYCLE_1)
	s_add_nc_u64 s[46:47], s[16:17], s[46:47]
	s_add_co_u32 s30, s30, s46
	s_cselect_b32 s16, -1, 0
	s_delay_alu instid0(SALU_CYCLE_1) | instskip(SKIP_1) | instid1(SALU_CYCLE_1)
	s_cmp_lg_u32 s16, 0
	s_add_co_ci_u32 s31, s31, s47
	s_mul_u64 s[44:45], s[44:45], s[30:31]
	s_delay_alu instid0(SALU_CYCLE_1)
	s_mul_hi_u32 s47, s30, s45
	s_mul_i32 s46, s30, s45
	s_mul_hi_u32 s16, s30, s44
	s_mul_i32 s33, s31, s44
	s_add_nc_u64 s[46:47], s[16:17], s[46:47]
	s_mul_hi_u32 s27, s31, s44
	s_mul_hi_u32 s36, s31, s45
	s_add_co_u32 s16, s46, s33
	s_add_co_ci_u32 s16, s47, s27
	s_mul_i32 s44, s31, s45
	s_add_co_ci_u32 s45, s36, 0
	s_delay_alu instid0(SALU_CYCLE_1) | instskip(NEXT) | instid1(SALU_CYCLE_1)
	s_add_nc_u64 s[44:45], s[16:17], s[44:45]
	s_add_co_u32 s27, s30, s44
	s_cselect_b32 s16, -1, 0
	s_delay_alu instid0(SALU_CYCLE_1) | instskip(SKIP_2) | instid1(SALU_CYCLE_1)
	s_cmp_lg_u32 s16, 0
	s_add_co_ci_u32 s33, s31, s45
	s_ashr_i32 s30, s23, 31
	s_mov_b32 s31, s30
	s_delay_alu instid0(SALU_CYCLE_1) | instskip(NEXT) | instid1(SALU_CYCLE_1)
	s_add_nc_u64 s[44:45], s[22:23], s[30:31]
	s_xor_b64 s[44:45], s[44:45], s[30:31]
	s_delay_alu instid0(SALU_CYCLE_1)
	s_mul_hi_u32 s47, s44, s33
	s_mul_i32 s46, s44, s33
	s_mul_hi_u32 s16, s44, s27
	s_mul_hi_u32 s49, s45, s27
	s_mul_i32 s27, s45, s27
	s_add_nc_u64 s[46:47], s[16:17], s[46:47]
	s_mul_hi_u32 s36, s45, s33
	s_add_co_u32 s16, s46, s27
	s_add_co_ci_u32 s16, s47, s49
	s_mul_i32 s48, s45, s33
	s_add_co_ci_u32 s49, s36, 0
	s_delay_alu instid0(SALU_CYCLE_1) | instskip(NEXT) | instid1(SALU_CYCLE_1)
	s_add_nc_u64 s[46:47], s[16:17], s[48:49]
	s_and_b64 s[48:49], s[46:47], 0xffffffff00000000
	s_delay_alu instid0(SALU_CYCLE_1) | instskip(NEXT) | instid1(SALU_CYCLE_1)
	s_or_b32 s48, s48, s46
	s_mul_u64 s[46:47], s[28:29], s[48:49]
	s_add_nc_u64 s[50:51], s[48:49], 1
	s_sub_co_u32 s16, s44, s46
	s_cselect_b32 s27, -1, 0
	s_sub_co_i32 s33, s45, s47
	s_cmp_lg_u32 s27, 0
	s_add_nc_u64 s[52:53], s[48:49], 2
	s_sub_co_ci_u32 s33, s33, s29
	s_sub_co_u32 s36, s16, s28
	s_cselect_b32 s44, -1, 0
	s_delay_alu instid0(SALU_CYCLE_1) | instskip(SKIP_1) | instid1(SALU_CYCLE_1)
	s_cmp_lg_u32 s44, 0
	s_sub_co_ci_u32 s33, s33, 0
	s_cmp_ge_u32 s33, s29
	s_cselect_b32 s44, -1, 0
	s_cmp_ge_u32 s36, s28
	s_cselect_b32 s36, -1, 0
	s_cmp_eq_u32 s33, s29
	s_cselect_b32 s33, s36, s44
	s_delay_alu instid0(SALU_CYCLE_1) | instskip(SKIP_4) | instid1(SALU_CYCLE_1)
	s_cmp_lg_u32 s33, 0
	s_cselect_b32 s33, s52, s50
	s_cselect_b32 s36, s53, s51
	s_cmp_lg_u32 s27, 0
	s_sub_co_ci_u32 s27, s45, s47
	s_cmp_ge_u32 s27, s29
	s_cselect_b32 s44, -1, 0
	s_cmp_ge_u32 s16, s28
	s_cselect_b32 s16, -1, 0
	s_cmp_eq_u32 s27, s29
	s_cselect_b32 s16, s16, s44
	s_delay_alu instid0(SALU_CYCLE_1) | instskip(SKIP_3) | instid1(SALU_CYCLE_1)
	s_cmp_lg_u32 s16, 0
	s_cselect_b32 s29, s36, s49
	s_cselect_b32 s28, s33, s48
	s_xor_b64 s[4:5], s[30:31], s[4:5]
	s_xor_b64 s[28:29], s[28:29], s[4:5]
	s_delay_alu instid0(SALU_CYCLE_1)
	s_sub_nc_u64 s[4:5], s[28:29], s[4:5]
	s_load_b96 s[28:30], s[0:1], 0x60
	s_cbranch_execnz .LBB1_8
.LBB1_7:
	v_cvt_f32_u32_e32 v1, s26
	s_wait_xcnt 0x0
	s_sub_co_i32 s1, 0, s26
	s_delay_alu instid0(VALU_DEP_1) | instskip(SKIP_1) | instid1(TRANS32_DEP_1)
	v_rcp_iflag_f32_e32 v1, v1
	v_nop
	v_mul_f32_e32 v1, 0x4f7ffffe, v1
	s_delay_alu instid0(VALU_DEP_1) | instskip(NEXT) | instid1(VALU_DEP_1)
	v_cvt_u32_f32_e32 v1, v1
	v_readfirstlane_b32 s0, v1
	s_mul_i32 s1, s1, s0
	s_delay_alu instid0(SALU_CYCLE_1) | instskip(NEXT) | instid1(SALU_CYCLE_1)
	s_mul_hi_u32 s1, s0, s1
	s_add_co_i32 s0, s0, s1
	s_delay_alu instid0(SALU_CYCLE_1) | instskip(NEXT) | instid1(SALU_CYCLE_1)
	s_mul_hi_u32 s0, s22, s0
	s_mul_i32 s1, s0, s26
	s_add_co_i32 s4, s0, 1
	s_sub_co_i32 s1, s22, s1
	s_delay_alu instid0(SALU_CYCLE_1)
	s_sub_co_i32 s5, s1, s26
	s_cmp_ge_u32 s1, s26
	s_cselect_b32 s0, s4, s0
	s_cselect_b32 s1, s5, s1
	s_add_co_i32 s4, s0, 1
	s_cmp_ge_u32 s1, s26
	s_mov_b32 s5, 0
	s_cselect_b32 s4, s4, s0
.LBB1_8:
	v_dual_mov_b32 v18, 0 :: v_dual_ashrrev_i32 v17, 31, v16
                                        ; implicit-def: $vgpr20_vgpr21
	s_wait_xcnt 0x0
	s_mov_b32 s0, exec_lo
	s_delay_alu instid0(VALU_DEP_1) | instskip(NEXT) | instid1(VALU_DEP_1)
	v_or_b32_e32 v19, s5, v17
	v_cmpx_ne_u64_e32 0, v[18:19]
	s_xor_b32 s1, exec_lo, s0
	s_cbranch_execz .LBB1_10
; %bb.9:
	s_ashr_i32 s16, s5, 31
	s_mov_b32 s51, 0
	s_mov_b32 s17, s16
	v_dual_mov_b32 v27, v18 :: v_dual_ashrrev_i32 v20, 31, v17
	s_add_nc_u64 s[26:27], s[4:5], s[16:17]
	s_delay_alu instid0(SALU_CYCLE_1) | instskip(NEXT) | instid1(VALU_DEP_1)
	s_xor_b64 s[26:27], s[26:27], s[16:17]
	v_mov_b32_e32 v21, v20
	s_cvt_f32_u32 s0, s26
	s_cvt_f32_u32 s5, s27
	s_sub_nc_u64 s[46:47], 0, s[26:27]
	s_delay_alu instid0(VALU_DEP_1) | instskip(NEXT) | instid1(SALU_CYCLE_1)
	v_add_nc_u64_e32 v[22:23], v[16:17], v[20:21]
	s_fmamk_f32 s0, s5, 0x4f800000, s0
	v_mov_b32_e32 v29, v18
	s_delay_alu instid0(SALU_CYCLE_2) | instskip(NEXT) | instid1(VALU_DEP_2)
	v_s_rcp_f32 s0, s0
	v_xor_b32_e32 v26, v22, v20
	s_delay_alu instid0(VALU_DEP_3) | instskip(NEXT) | instid1(TRANS32_DEP_1)
	v_dual_mov_b32 v35, v18 :: v_dual_bitop2_b32 v28, v23, v20 bitop3:0x14
	s_mul_f32 s0, s0, 0x5f7ffffc
	s_delay_alu instid0(SALU_CYCLE_3) | instskip(NEXT) | instid1(SALU_CYCLE_3)
	s_mul_f32 s5, s0, 0x2f800000
	s_trunc_f32 s5, s5
	s_delay_alu instid0(SALU_CYCLE_3) | instskip(SKIP_1) | instid1(SALU_CYCLE_2)
	s_fmamk_f32 s0, s5, 0xcf800000, s0
	s_cvt_u32_f32 s45, s5
	s_cvt_u32_f32 s44, s0
	s_delay_alu instid0(SALU_CYCLE_3) | instskip(NEXT) | instid1(SALU_CYCLE_1)
	s_mul_u64 s[48:49], s[46:47], s[44:45]
	s_mul_hi_u32 s53, s44, s49
	s_mul_i32 s52, s44, s49
	s_mul_hi_u32 s50, s44, s48
	s_mul_i32 s5, s45, s48
	s_add_nc_u64 s[52:53], s[50:51], s[52:53]
	s_mul_hi_u32 s0, s45, s48
	s_mul_hi_u32 s17, s45, s49
	s_add_co_u32 s5, s52, s5
	s_add_co_ci_u32 s50, s53, s0
	s_mul_i32 s48, s45, s49
	s_add_co_ci_u32 s49, s17, 0
	s_delay_alu instid0(SALU_CYCLE_1) | instskip(NEXT) | instid1(SALU_CYCLE_1)
	s_add_nc_u64 s[48:49], s[50:51], s[48:49]
	s_add_co_u32 s44, s44, s48
	s_cselect_b32 s0, -1, 0
	s_delay_alu instid0(SALU_CYCLE_1) | instskip(SKIP_1) | instid1(SALU_CYCLE_1)
	s_cmp_lg_u32 s0, 0
	s_add_co_ci_u32 s45, s45, s49
	s_mul_u64 s[46:47], s[46:47], s[44:45]
	s_delay_alu instid0(SALU_CYCLE_1)
	s_mul_hi_u32 s49, s44, s47
	s_mul_i32 s48, s44, s47
	s_mul_hi_u32 s50, s44, s46
	s_mul_i32 s5, s45, s46
	s_add_nc_u64 s[48:49], s[50:51], s[48:49]
	s_mul_hi_u32 s0, s45, s46
	s_mul_hi_u32 s17, s45, s47
	s_add_co_u32 s5, s48, s5
	s_add_co_ci_u32 s50, s49, s0
	s_mul_i32 s46, s45, s47
	s_add_co_ci_u32 s47, s17, 0
	s_delay_alu instid0(SALU_CYCLE_1) | instskip(NEXT) | instid1(SALU_CYCLE_1)
	s_add_nc_u64 s[46:47], s[50:51], s[46:47]
	s_add_co_u32 s0, s44, s46
	s_cselect_b32 s5, -1, 0
	v_mul_hi_u32 v34, v26, s0
	s_cmp_lg_u32 s5, 0
	s_add_co_ci_u32 s50, s45, s47
	s_mov_b64 s[44:45], 0xffffffff
	v_mul_u64_e32 v[30:31], s[50:51], v[26:27]
	s_and_b64 s[44:45], s[0:1], s[44:45]
	v_mul_u64_e32 v[32:33], s[50:51], v[28:29]
	v_mul_u64_e32 v[22:23], s[44:45], v[28:29]
	s_delay_alu instid0(VALU_DEP_3) | instskip(NEXT) | instid1(VALU_DEP_1)
	v_add_nc_u64_e32 v[30:31], v[34:35], v[30:31]
	v_add_co_u32 v1, vcc_lo, v30, v22
	s_delay_alu instid0(VALU_DEP_2) | instskip(SKIP_1) | instid1(VALU_DEP_1)
	v_add_co_ci_u32_e32 v34, vcc_lo, v31, v23, vcc_lo
	v_add_co_ci_u32_e32 v33, vcc_lo, 0, v33, vcc_lo
	v_add_nc_u64_e32 v[22:23], v[34:35], v[32:33]
	s_delay_alu instid0(VALU_DEP_1) | instskip(NEXT) | instid1(VALU_DEP_1)
	v_mul_u64_e32 v[30:31], s[26:27], v[22:23]
	v_sub_nc_u32_e32 v1, v28, v31
	s_delay_alu instid0(VALU_DEP_2) | instskip(NEXT) | instid1(VALU_DEP_1)
	v_sub_co_u32 v17, vcc_lo, v26, v30
	v_sub_co_ci_u32_e64 v21, null, v28, v31, vcc_lo
	s_delay_alu instid0(VALU_DEP_3) | instskip(NEXT) | instid1(VALU_DEP_3)
	v_subrev_co_ci_u32_e64 v1, null, s27, v1, vcc_lo
	v_sub_co_u32 v19, s0, v17, s26
	v_add_nc_u64_e32 v[26:27], 2, v[22:23]
	s_delay_alu instid0(VALU_DEP_3) | instskip(NEXT) | instid1(VALU_DEP_3)
	v_subrev_co_ci_u32_e64 v1, null, 0, v1, s0
	v_cmp_le_u32_e32 vcc_lo, s26, v19
	v_add_nc_u64_e32 v[28:29], 1, v[22:23]
	v_cndmask_b32_e64 v19, 0, -1, vcc_lo
	s_delay_alu instid0(VALU_DEP_4)
	v_cmp_le_u32_e32 vcc_lo, s27, v1
	v_cndmask_b32_e64 v25, 0, -1, vcc_lo
	v_cmp_le_u32_e32 vcc_lo, s26, v17
	v_cndmask_b32_e64 v17, 0, -1, vcc_lo
	;; [unrolled: 2-line block ×3, first 2 shown]
	v_cmp_eq_u32_e32 vcc_lo, s27, v1
	v_cndmask_b32_e32 v1, v25, v19, vcc_lo
	v_cmp_eq_u32_e32 vcc_lo, s27, v21
	s_delay_alu instid0(VALU_DEP_4) | instskip(NEXT) | instid1(VALU_DEP_3)
	v_cndmask_b32_e32 v17, v30, v17, vcc_lo
	v_cmp_ne_u32_e32 vcc_lo, 0, v1
	s_delay_alu instid0(VALU_DEP_2) | instskip(SKIP_1) | instid1(VALU_DEP_1)
	v_cmp_ne_u32_e64 s0, 0, v17
	v_dual_cndmask_b32 v1, v29, v27, vcc_lo :: v_dual_cndmask_b32 v17, v28, v26, vcc_lo
	v_dual_cndmask_b32 v1, v23, v1, s0 :: v_dual_bitop2_b32 v20, s16, v20 bitop3:0x14
	s_delay_alu instid0(VALU_DEP_1) | instskip(NEXT) | instid1(VALU_DEP_2)
	v_dual_cndmask_b32 v17, v22, v17, s0 :: v_dual_mov_b32 v21, v20
	v_xor_b32_e32 v23, v1, v20
	s_delay_alu instid0(VALU_DEP_2) | instskip(NEXT) | instid1(VALU_DEP_1)
	v_xor_b32_e32 v22, v17, v20
	v_sub_nc_u64_e32 v[20:21], v[22:23], v[20:21]
.LBB1_10:
	s_or_saveexec_b32 s0, s1
	v_mov_b32_e32 v19, v16
	s_xor_b32 exec_lo, exec_lo, s0
	s_cbranch_execz .LBB1_12
; %bb.11:
	v_cvt_f32_u32_e32 v1, s4
	s_sub_co_i32 s1, 0, s4
	s_delay_alu instid0(VALU_DEP_1) | instskip(SKIP_1) | instid1(TRANS32_DEP_1)
	v_rcp_iflag_f32_e32 v1, v1
	v_nop
	v_mul_f32_e32 v1, 0x4f7ffffe, v1
	s_delay_alu instid0(VALU_DEP_1) | instskip(NEXT) | instid1(VALU_DEP_1)
	v_cvt_u32_f32_e32 v1, v1
	v_mul_lo_u32 v17, s1, v1
	s_delay_alu instid0(VALU_DEP_1) | instskip(NEXT) | instid1(VALU_DEP_1)
	v_mul_hi_u32 v17, v1, v17
	v_add_nc_u32_e32 v1, v1, v17
	s_delay_alu instid0(VALU_DEP_1) | instskip(NEXT) | instid1(VALU_DEP_1)
	v_mul_hi_u32 v1, v19, v1
	v_mul_lo_u32 v17, v1, s4
	v_add_nc_u32_e32 v20, 1, v1
	s_delay_alu instid0(VALU_DEP_2) | instskip(NEXT) | instid1(VALU_DEP_1)
	v_sub_nc_u32_e32 v17, v19, v17
	v_subrev_nc_u32_e32 v21, s4, v17
	v_cmp_le_u32_e32 vcc_lo, s4, v17
	s_delay_alu instid0(VALU_DEP_2) | instskip(SKIP_1) | instid1(VALU_DEP_2)
	v_cndmask_b32_e32 v17, v17, v21, vcc_lo
	v_cndmask_b32_e32 v1, v1, v20, vcc_lo
	v_cmp_le_u32_e32 vcc_lo, s4, v17
	s_delay_alu instid0(VALU_DEP_2) | instskip(NEXT) | instid1(VALU_DEP_1)
	v_add_nc_u32_e32 v20, 1, v1
	v_cndmask_b32_e32 v20, v1, v20, vcc_lo
.LBB1_12:
	s_or_b32 exec_lo, exec_lo, s0
	v_mul_lo_u32 v22, s42, v16
	v_lshlrev_b64_e32 v[26:27], 2, v[14:15]
	s_mul_u64 s[22:23], s[24:25], s[22:23]
	v_mbcnt_lo_u32_b32 v1, -1, 0
	s_wait_kmcnt 0x0
	s_mul_i32 s26, s30, s2
	s_mul_u64 s[30:31], s[22:23], s[2:3]
	s_mul_i32 s4, s39, s2
	s_mul_u64 s[30:31], s[30:31], s[34:35]
	s_ashr_i32 s5, s4, 31
	s_lshl_b64 s[30:31], s[30:31], 2
	s_add_nc_u64 s[4:5], s[6:7], s[4:5]
	v_dual_ashrrev_i32 v23, 31, v22 :: v_dual_lshlrev_b32 v14, 10, v20
	s_add_nc_u64 s[30:31], s[18:19], s[30:31]
	v_add_nc_u64_e32 v[16:17], s[4:5], v[26:27]
	v_xor_b32_e32 v28, 2, v1
	s_delay_alu instid0(VALU_DEP_3)
	v_dual_ashrrev_i32 v15, 31, v14 :: v_dual_bitop2_b32 v25, 16, v1 bitop3:0x14
	v_add_nc_u64_e32 v[20:21], s[10:11], v[22:23]
	v_add_nc_u64_e32 v[22:23], s[30:31], v[26:27]
	v_xor_b32_e32 v27, 4, v1
	v_xor_b32_e32 v26, 8, v1
	v_cmp_gt_i32_e32 vcc_lo, 32, v25
	s_mul_i32 s24, s41, s2
	v_ashrrev_i64 v[18:19], 30, v[18:19]
	s_ashr_i32 s25, s24, 31
	s_ashr_i32 s27, s26, 31
	v_cndmask_b32_e32 v25, v1, v25, vcc_lo
	v_cmp_gt_i32_e32 vcc_lo, 32, v26
	s_add_nc_u64 s[6:7], s[8:9], s[24:25]
	s_mul_i32 s8, s28, s2
	s_add_nc_u64 s[10:11], s[14:15], s[26:27]
	s_ashr_i32 s9, s8, 31
	v_cndmask_b32_e32 v26, v1, v26, vcc_lo
	v_cmp_gt_i32_e32 vcc_lo, 32, v27
	v_lshlrev_b32_e32 v30, 2, v25
	s_add_nc_u64 s[8:9], s[12:13], s[8:9]
	v_add_nc_u64_e32 v[18:19], s[6:7], v[18:19]
	v_dual_lshlrev_b32 v31, 2, v26 :: v_dual_cndmask_b32 v27, v1, v27, vcc_lo
	v_xor_b32_e32 v29, 1, v1
	v_cmp_gt_i32_e32 vcc_lo, 32, v28
	s_ashr_i32 s0, s43, 2
	s_ashr_i32 s16, s38, 2
	v_lshlrev_b32_e32 v32, 2, v27
	s_ashr_i32 s6, s40, 2
	v_cndmask_b32_e32 v28, v1, v28, vcc_lo
	v_cmp_gt_i32_e32 vcc_lo, 32, v29
	s_ashr_i32 s24, s29, 2
	s_ashr_i32 s7, s6, 31
	;; [unrolled: 1-line block ×3, first 2 shown]
	v_dual_lshlrev_b32 v33, 2, v28 :: v_dual_cndmask_b32 v1, v1, v29, vcc_lo
	v_cmp_eq_u32_e32 vcc_lo, 0, v24
	v_mov_b32_e32 v28, 0x3f317218
	s_ashr_i32 s1, s0, 31
	s_ashr_i32 s25, s24, 31
	v_dual_mov_b32 v1, 0 :: v_dual_lshlrev_b32 v34, 2, v1
	s_bfe_i64 s[4:5], s[22:23], 0x200000
	s_lshl_b64 s[6:7], s[6:7], 2
	s_lshl_b64 s[4:5], s[4:5], 2
	;; [unrolled: 1-line block ×3, first 2 shown]
	v_add_nc_u64_e32 v[24:25], s[8:9], v[0:1]
	v_add_nc_u64_e32 v[26:27], s[10:11], v[0:1]
	s_lshl_b64 s[8:9], s[16:17], 2
	s_lshl_b64 s[10:11], s[0:1], 2
	s_mov_b32 s1, 0x3e9b6dac
	s_branch .LBB1_14
.LBB1_13:                               ;   in Loop: Header=BB1_14 Depth=1
	s_wait_xcnt 0x0
	s_or_b32 exec_lo, exec_lo, s0
	v_add_nc_u64_e32 v[22:23], s[4:5], v[22:23]
	v_add_nc_u64_e32 v[18:19], s[6:7], v[18:19]
	;; [unrolled: 1-line block ×5, first 2 shown]
	s_add_nc_u64 s[34:35], s[34:35], -1
	s_delay_alu instid0(SALU_CYCLE_1)
	s_cmp_eq_u64 s[34:35], 0
	s_cbranch_scc1 .LBB1_18
.LBB1_14:                               ; =>This Inner Loop Header: Depth=1
	global_load_b32 v1, v[18:19], off
	s_mov_b32 s3, exec_lo
	s_wait_loadcnt 0x0
	s_wait_xcnt 0x0
	v_cmpx_ge_f32_e32 0x41a00000, v1
	s_cbranch_execz .LBB1_16
; %bb.15:                               ;   in Loop: Header=BB1_14 Depth=1
	s_wait_dscnt 0x0
	v_mul_f32_e32 v29, 0x3fb8aa3b, v1
	v_cmp_ngt_f32_e64 s0, 0xc2ce8ed0, v1
	s_delay_alu instid0(VALU_DEP_2) | instskip(SKIP_1) | instid1(VALU_DEP_1)
	v_rndne_f32_e32 v35, v29
	v_fma_f32 v36, 0x3fb8aa3b, v1, -v29
	v_dual_sub_f32 v29, v29, v35 :: v_dual_fmac_f32 v36, 0x32a5705f, v1
	v_cvt_i32_f32_e32 v35, v35
	s_delay_alu instid0(VALU_DEP_2) | instskip(NEXT) | instid1(VALU_DEP_1)
	v_add_f32_e32 v29, v29, v36
	v_exp_f32_e32 v29, v29
	v_nop
	s_delay_alu instid0(TRANS32_DEP_1) | instskip(NEXT) | instid1(VALU_DEP_1)
	v_ldexp_f32 v29, v29, v35
	v_cndmask_b32_e64 v29, 0, v29, s0
	v_cmp_nlt_f32_e64 s0, 0x42b17218, v1
	s_delay_alu instid0(VALU_DEP_1) | instskip(NEXT) | instid1(VALU_DEP_1)
	v_cndmask_b32_e64 v35, 0x7f800000, v29, s0
	v_add_f32_e32 v1, 1.0, v35
	s_delay_alu instid0(VALU_DEP_1) | instskip(NEXT) | instid1(VALU_DEP_1)
	v_cvt_f64_f32_e32 v[36:37], v1
	v_frexp_exp_i32_f64_e32 v29, v[36:37]
	v_frexp_mant_f32_e32 v36, v1
	s_delay_alu instid0(VALU_DEP_1) | instskip(SKIP_1) | instid1(VALU_DEP_1)
	v_cmp_gt_f32_e64 s0, 0x3f2aaaab, v36
	v_add_f32_e32 v36, -1.0, v1
	v_dual_sub_f32 v38, v36, v1 :: v_dual_sub_f32 v36, v35, v36
	s_delay_alu instid0(VALU_DEP_1) | instskip(NEXT) | instid1(VALU_DEP_4)
	v_add_f32_e32 v38, 1.0, v38
	v_subrev_co_ci_u32_e64 v29, null, 0, v29, s0
	v_cmp_neq_f32_e64 s0, 0x7f800000, v35
	s_delay_alu instid0(VALU_DEP_2) | instskip(NEXT) | instid1(VALU_DEP_1)
	v_sub_nc_u32_e32 v37, 0, v29
	v_ldexp_f32 v1, v1, v37
	s_delay_alu instid0(VALU_DEP_1) | instskip(NEXT) | instid1(VALU_DEP_1)
	v_dual_add_f32 v39, 1.0, v1 :: v_dual_add_f32 v36, v36, v38
	v_dual_add_f32 v38, -1.0, v39 :: v_dual_add_f32 v41, -1.0, v1
	s_delay_alu instid0(VALU_DEP_2) | instskip(NEXT) | instid1(VALU_DEP_2)
	v_ldexp_f32 v36, v36, v37
	v_sub_f32_e32 v37, v1, v38
	s_delay_alu instid0(VALU_DEP_1) | instskip(NEXT) | instid1(VALU_DEP_1)
	v_add_f32_e32 v40, v36, v37
	v_dual_add_f32 v38, 1.0, v41 :: v_dual_add_f32 v42, v39, v40
	s_delay_alu instid0(VALU_DEP_1) | instskip(NEXT) | instid1(VALU_DEP_2)
	v_sub_f32_e32 v1, v1, v38
	v_rcp_f32_e32 v43, v42
	s_delay_alu instid0(VALU_DEP_1) | instskip(NEXT) | instid1(VALU_DEP_1)
	v_dual_add_f32 v1, v36, v1 :: v_dual_sub_f32 v36, v39, v42
	v_dual_add_f32 v37, v41, v1 :: v_dual_add_f32 v45, v40, v36
	s_delay_alu instid0(TRANS32_DEP_1) | instid1(VALU_DEP_1)
	v_mul_f32_e32 v44, v37, v43
	s_delay_alu instid0(VALU_DEP_1) | instskip(NEXT) | instid1(VALU_DEP_1)
	v_dual_sub_f32 v46, v41, v37 :: v_dual_mul_f32 v38, v42, v44
	v_add_f32_e32 v1, v1, v46
	s_delay_alu instid0(VALU_DEP_2) | instskip(NEXT) | instid1(VALU_DEP_1)
	v_fma_f32 v40, v44, v42, -v38
	v_fmac_f32_e32 v40, v44, v45
	s_delay_alu instid0(VALU_DEP_1) | instskip(NEXT) | instid1(VALU_DEP_1)
	v_add_f32_e32 v36, v38, v40
	v_dual_sub_f32 v39, v37, v36 :: v_dual_mov_b32 v41, v36
	s_delay_alu instid0(VALU_DEP_1) | instskip(NEXT) | instid1(VALU_DEP_1)
	v_pk_add_f32 v[36:37], v[36:37], v[38:39] neg_lo:[0,1] neg_hi:[0,1]
	v_pk_add_f32 v[36:37], v[36:37], v[40:41] neg_lo:[0,1] neg_hi:[0,1]
	s_delay_alu instid0(VALU_DEP_1) | instskip(NEXT) | instid1(VALU_DEP_1)
	v_add_f32_e32 v1, v1, v37
	v_add_f32_e32 v1, v36, v1
	s_delay_alu instid0(VALU_DEP_1) | instskip(NEXT) | instid1(VALU_DEP_1)
	v_add_f32_e32 v37, v39, v1
	v_mul_f32_e32 v46, v43, v37
	s_delay_alu instid0(VALU_DEP_1) | instskip(NEXT) | instid1(VALU_DEP_1)
	v_mul_f32_e32 v40, v42, v46
	v_fma_f32 v38, v46, v42, -v40
	s_delay_alu instid0(VALU_DEP_1) | instskip(NEXT) | instid1(VALU_DEP_1)
	v_fmac_f32_e32 v38, v46, v45
	v_dual_add_f32 v36, v40, v38 :: v_dual_sub_f32 v42, v39, v37
	s_delay_alu instid0(VALU_DEP_1) | instskip(NEXT) | instid1(VALU_DEP_2)
	v_dual_mov_b32 v39, v36 :: v_dual_sub_f32 v41, v37, v36
	v_add_f32_e32 v1, v1, v42
	v_add_f32_e32 v42, v44, v46
	s_delay_alu instid0(VALU_DEP_3) | instskip(NEXT) | instid1(VALU_DEP_1)
	v_pk_add_f32 v[36:37], v[36:37], v[40:41] neg_lo:[0,1] neg_hi:[0,1]
	v_pk_add_f32 v[36:37], v[36:37], v[38:39] neg_lo:[0,1] neg_hi:[0,1]
	s_delay_alu instid0(VALU_DEP_1) | instskip(NEXT) | instid1(VALU_DEP_1)
	v_add_f32_e32 v1, v1, v37
	v_dual_add_f32 v1, v36, v1 :: v_dual_sub_f32 v36, v42, v44
	s_delay_alu instid0(VALU_DEP_1) | instskip(NEXT) | instid1(VALU_DEP_1)
	v_dual_sub_f32 v36, v46, v36 :: v_dual_add_f32 v1, v41, v1
	v_mul_f32_e32 v1, v43, v1
	s_delay_alu instid0(VALU_DEP_1) | instskip(SKIP_1) | instid1(VALU_DEP_2)
	v_add_f32_e32 v1, v36, v1
	v_cvt_f32_i32_e32 v36, v29
	v_add_f32_e32 v43, v42, v1
	s_delay_alu instid0(VALU_DEP_1) | instskip(SKIP_1) | instid1(VALU_DEP_2)
	v_mul_f32_e32 v38, v43, v43
	v_ldexp_f32 v41, v43, 1
	v_fmaak_f32 v39, s1, v38, 0x3ecc95a3
	v_mul_f32_e32 v37, v43, v38
	s_delay_alu instid0(VALU_DEP_2) | instskip(NEXT) | instid1(VALU_DEP_1)
	v_fmaak_f32 v29, v38, v39, 0x3f2aaada
	v_pk_mul_f32 v[38:39], v[36:37], v[28:29]
	v_sub_f32_e32 v29, v43, v42
	s_delay_alu instid0(VALU_DEP_2) | instskip(SKIP_1) | instid1(VALU_DEP_2)
	v_fma_f32 v40, 0x3f317218, v36, -v38
	v_mov_b32_e32 v42, v38
	v_dual_fmac_f32 v40, 0xb102e308, v36 :: v_dual_sub_f32 v1, v1, v29
	s_delay_alu instid0(VALU_DEP_1) | instskip(NEXT) | instid1(VALU_DEP_1)
	v_pk_add_f32 v[36:37], v[38:39], v[40:41]
	v_dual_sub_f32 v29, v37, v41 :: v_dual_mov_b32 v50, v37
	s_delay_alu instid0(VALU_DEP_1) | instskip(NEXT) | instid1(VALU_DEP_4)
	v_dual_mov_b32 v41, v36 :: v_dual_sub_f32 v29, v39, v29
	v_ldexp_f32 v1, v1, 1
	v_pk_add_f32 v[38:39], v[36:37], v[38:39] neg_lo:[0,1] neg_hi:[0,1]
	s_delay_alu instid0(VALU_DEP_2) | instskip(NEXT) | instid1(VALU_DEP_1)
	v_add_f32_e32 v43, v1, v29
	v_pk_add_f32 v[44:45], v[36:37], v[42:43]
	s_delay_alu instid0(VALU_DEP_1) | instskip(NEXT) | instid1(VALU_DEP_1)
	v_mov_b32_e32 v39, v45
	v_pk_add_f32 v[46:47], v[40:41], v[38:39]
	v_mov_b32_e32 v46, v45
	v_pk_add_f32 v[38:39], v[40:41], v[38:39] neg_lo:[0,1] neg_hi:[0,1]
	s_delay_alu instid0(VALU_DEP_3) | instskip(NEXT) | instid1(VALU_DEP_1)
	v_mov_b32_e32 v42, v47
	v_pk_add_f32 v[48:49], v[42:43], v[36:37] neg_lo:[0,1] neg_hi:[0,1]
	s_delay_alu instid0(VALU_DEP_1) | instskip(SKIP_1) | instid1(VALU_DEP_2)
	v_dual_mov_b32 v37, v36 :: v_dual_mov_b32 v51, v48
	v_dual_mov_b32 v36, v43 :: v_dual_mov_b32 v1, v48
	v_pk_add_f32 v[48:49], v[46:47], v[50:51] neg_lo:[0,1] neg_hi:[0,1]
	s_delay_alu instid0(VALU_DEP_2) | instskip(SKIP_1) | instid1(VALU_DEP_3)
	v_pk_add_f32 v[40:41], v[44:45], v[0:1] neg_lo:[0,1] neg_hi:[0,1]
	v_mov_b32_e32 v40, v38
	v_pk_add_f32 v[36:37], v[36:37], v[48:49] neg_lo:[0,1] neg_hi:[0,1]
	s_delay_alu instid0(VALU_DEP_1) | instskip(NEXT) | instid1(VALU_DEP_1)
	v_pk_add_f32 v[40:41], v[40:41], v[36:37]
	v_mov_b32_e32 v44, v41
	s_delay_alu instid0(VALU_DEP_1) | instskip(NEXT) | instid1(VALU_DEP_1)
	v_pk_add_f32 v[44:45], v[40:41], v[44:45]
	v_pk_add_f32 v[42:43], v[42:43], v[44:45]
	s_delay_alu instid0(VALU_DEP_1) | instskip(NEXT) | instid1(VALU_DEP_1)
	v_dual_mov_b32 v39, v47 :: v_dual_mov_b32 v41, v42
	v_pk_add_f32 v[46:47], v[40:41], v[38:39] neg_lo:[0,1] neg_hi:[0,1]
	s_delay_alu instid0(VALU_DEP_1) | instskip(NEXT) | instid1(VALU_DEP_1)
	v_sub_f32_e32 v1, v40, v46
	v_dual_mov_b32 v37, v44 :: v_dual_sub_f32 v1, v38, v1
	s_delay_alu instid0(VALU_DEP_1) | instskip(NEXT) | instid1(VALU_DEP_1)
	v_pk_add_f32 v[36:37], v[36:37], v[46:47] neg_lo:[0,1] neg_hi:[0,1]
	v_add_f32_e32 v1, v36, v1
	s_delay_alu instid0(VALU_DEP_1) | instskip(NEXT) | instid1(VALU_DEP_1)
	v_add_f32_e32 v1, v1, v37
	v_add_f32_e32 v1, v42, v1
	s_delay_alu instid0(VALU_DEP_1) | instskip(SKIP_1) | instid1(VALU_DEP_1)
	v_cndmask_b32_e64 v1, 0x7f800000, v1, s0
	v_cmp_gt_f32_e64 s0, 0x33800000, v35
	v_cndmask_b32_e64 v1, v1, v35, s0
.LBB1_16:                               ;   in Loop: Header=BB1_14 Depth=1
	s_or_b32 exec_lo, exec_lo, s3
	s_wait_dscnt 0x0
	global_load_b32 v29, v[20:21], off
	v_add_nc_u64_e32 v[36:37], v[24:25], v[14:15]
	v_add_nc_u64_e32 v[40:41], v[26:27], v[14:15]
	global_load_b32 v35, v[16:17], off
	s_clause 0x3
	global_load_b32 v38, v[36:37], off
	global_load_b32 v39, v[36:37], off offset:128
	global_load_b32 v42, v[36:37], off offset:256
	;; [unrolled: 1-line block ×3, first 2 shown]
	s_clause 0x1
	global_load_b32 v48, v[40:41], off
	global_load_b32 v49, v[40:41], off offset:128
	s_clause 0x1
	global_load_b32 v44, v[36:37], off offset:512
	global_load_b32 v45, v[36:37], off offset:640
	s_clause 0x2
	global_load_b32 v50, v[40:41], off offset:256
	global_load_b32 v51, v[40:41], off offset:384
	;; [unrolled: 1-line block ×3, first 2 shown]
	s_clause 0x1
	global_load_b32 v46, v[36:37], off offset:768
	global_load_b32 v47, v[36:37], off offset:896
	s_clause 0x2
	global_load_b32 v53, v[40:41], off offset:640
	global_load_b32 v54, v[40:41], off offset:768
	;; [unrolled: 1-line block ×3, first 2 shown]
	s_wait_loadcnt 0x11
	v_mul_f32_e32 v29, v1, v29
	s_wait_xcnt 0x3
	s_delay_alu instid0(VALU_DEP_1) | instskip(NEXT) | instid1(VALU_DEP_1)
	v_mul_f32_e32 v36, 0x3fb8aa3b, v29
	v_fma_f32 v37, 0x3fb8aa3b, v29, -v36
	s_wait_xcnt 0x0
	v_rndne_f32_e32 v40, v36
	s_delay_alu instid0(VALU_DEP_1) | instskip(SKIP_1) | instid1(VALU_DEP_2)
	v_dual_sub_f32 v36, v36, v40 :: v_dual_fmac_f32 v37, 0x32a5705f, v29
	v_cmp_ngt_f32_e64 s0, 0xc2ce8ed0, v29
	v_add_f32_e32 v36, v36, v37
	v_cvt_i32_f32_e32 v37, v40
	s_delay_alu instid0(VALU_DEP_2) | instskip(SKIP_1) | instid1(TRANS32_DEP_1)
	v_exp_f32_e32 v36, v36
	v_nop
	v_ldexp_f32 v37, v36, v37
	s_wait_loadcnt 0x10
	s_delay_alu instid0(VALU_DEP_1) | instskip(SKIP_2) | instid1(VALU_DEP_2)
	v_dual_mul_f32 v36, v1, v35 :: v_dual_cndmask_b32 v1, 0, v37, s0
	v_cmp_nlt_f32_e64 s0, 0x42b17218, v29
	s_wait_loadcnt 0xe
	v_pk_mul_f32 v[38:39], v[36:37], v[38:39] op_sel_hi:[0,1]
	s_delay_alu instid0(VALU_DEP_2) | instskip(NEXT) | instid1(VALU_DEP_1)
	v_cndmask_b32_e64 v40, 0x7f800000, v1, s0
	v_pk_fma_f32 v[12:13], v[40:41], v[12:13], v[38:39] op_sel_hi:[0,1,1]
	s_wait_loadcnt 0xc
	v_pk_mul_f32 v[38:39], v[36:37], v[42:43] op_sel_hi:[0,1]
	s_wait_loadcnt 0xb
	s_delay_alu instid0(VALU_DEP_2) | instskip(NEXT) | instid1(VALU_DEP_2)
	v_fma_f32 v1, v48, v12, 0
	v_pk_fma_f32 v[10:11], v[40:41], v[10:11], v[38:39] op_sel_hi:[0,1,1]
	s_wait_loadcnt 0x8
	v_pk_mul_f32 v[38:39], v[36:37], v[44:45] op_sel_hi:[0,1]
	s_wait_loadcnt 0x3
	v_pk_mul_f32 v[36:37], v[36:37], v[46:47] op_sel_hi:[0,1]
	v_fmac_f32_e32 v1, v49, v13
	s_delay_alu instid0(VALU_DEP_3) | instskip(NEXT) | instid1(VALU_DEP_3)
	v_pk_fma_f32 v[8:9], v[40:41], v[8:9], v[38:39] op_sel_hi:[0,1,1]
	v_pk_fma_f32 v[6:7], v[40:41], v[6:7], v[36:37] op_sel_hi:[0,1,1]
	s_delay_alu instid0(VALU_DEP_3) | instskip(NEXT) | instid1(VALU_DEP_1)
	v_fmac_f32_e32 v1, v50, v10
	v_fmac_f32_e32 v1, v51, v11
	s_delay_alu instid0(VALU_DEP_1) | instskip(SKIP_1) | instid1(VALU_DEP_1)
	v_fmac_f32_e32 v1, v52, v8
	s_wait_loadcnt 0x2
	v_fmac_f32_e32 v1, v53, v9
	s_wait_loadcnt 0x1
	s_delay_alu instid0(VALU_DEP_1) | instskip(SKIP_1) | instid1(VALU_DEP_1)
	v_fmac_f32_e32 v1, v54, v6
	s_wait_loadcnt 0x0
	v_fmac_f32_e32 v1, v55, v7
	ds_bpermute_b32 v29, v30, v1
	s_wait_dscnt 0x0
	v_add_f32_e32 v1, v1, v29
	ds_bpermute_b32 v29, v31, v1
	s_wait_dscnt 0x0
	v_add_f32_e32 v1, v1, v29
	;; [unrolled: 3-line block ×4, first 2 shown]
	ds_bpermute_b32 v29, v34, v1
	s_and_saveexec_b32 s0, vcc_lo
	s_cbranch_execz .LBB1_13
; %bb.17:                               ;   in Loop: Header=BB1_14 Depth=1
	s_wait_dscnt 0x0
	v_add_f32_e32 v1, v1, v29
	global_store_b32 v[22:23], v1, off
	s_branch .LBB1_13
.LBB1_18:
	s_mul_i32 s0, s37, s2
	s_add_nc_u64 s[2:3], s[18:19], s[20:21]
	s_ashr_i32 s1, s0, 31
	v_mov_b32_e32 v1, 0
	s_add_nc_u64 s[0:1], s[2:3], s[0:1]
	s_delay_alu instid0(SALU_CYCLE_1) | instskip(NEXT) | instid1(VALU_DEP_1)
	v_add_nc_u64_e32 v[2:3], s[0:1], v[2:3]
	v_add_nc_u64_e32 v[2:3], v[2:3], v[4:5]
	s_delay_alu instid0(VALU_DEP_1)
	v_add_nc_u64_e32 v[0:1], v[2:3], v[0:1]
	s_wait_loadcnt 0x7
	global_store_b32 v[0:1], v12, off
	s_wait_loadcnt 0x6
	global_store_b32 v[0:1], v13, off offset:128
	s_wait_loadcnt 0x5
	global_store_b32 v[0:1], v10, off offset:256
	s_wait_loadcnt 0x4
	global_store_b32 v[0:1], v11, off offset:384
	s_wait_loadcnt 0x3
	global_store_b32 v[0:1], v8, off offset:512
	s_wait_loadcnt 0x2
	global_store_b32 v[0:1], v9, off offset:640
	s_wait_loadcnt 0x1
	global_store_b32 v[0:1], v6, off offset:768
	s_wait_loadcnt 0x0
	global_store_b32 v[0:1], v7, off offset:896
	s_endpgm
.LBB1_19:
                                        ; implicit-def: $sgpr4_sgpr5
	s_load_b96 s[28:30], s[0:1], 0x60
	s_branch .LBB1_7
	.section	.rodata,"a",@progbits
	.p2align	6, 0x0
	.amdhsa_kernel _Z18ssm_scan_f32_groupILi8ELi256EEvPKfS1_S1_S1_S1_S1_PKiPfiiiiiiiiiiilllll
		.amdhsa_group_segment_fixed_size 0
		.amdhsa_private_segment_fixed_size 0
		.amdhsa_kernarg_size 152
		.amdhsa_user_sgpr_count 2
		.amdhsa_user_sgpr_dispatch_ptr 0
		.amdhsa_user_sgpr_queue_ptr 0
		.amdhsa_user_sgpr_kernarg_segment_ptr 1
		.amdhsa_user_sgpr_dispatch_id 0
		.amdhsa_user_sgpr_kernarg_preload_length 0
		.amdhsa_user_sgpr_kernarg_preload_offset 0
		.amdhsa_user_sgpr_private_segment_size 0
		.amdhsa_wavefront_size32 1
		.amdhsa_uses_dynamic_stack 0
		.amdhsa_enable_private_segment 0
		.amdhsa_system_sgpr_workgroup_id_x 1
		.amdhsa_system_sgpr_workgroup_id_y 1
		.amdhsa_system_sgpr_workgroup_id_z 0
		.amdhsa_system_sgpr_workgroup_info 0
		.amdhsa_system_vgpr_workitem_id 0
		.amdhsa_next_free_vgpr 56
		.amdhsa_next_free_sgpr 54
		.amdhsa_named_barrier_count 0
		.amdhsa_reserve_vcc 1
		.amdhsa_float_round_mode_32 0
		.amdhsa_float_round_mode_16_64 0
		.amdhsa_float_denorm_mode_32 3
		.amdhsa_float_denorm_mode_16_64 3
		.amdhsa_fp16_overflow 0
		.amdhsa_memory_ordered 1
		.amdhsa_forward_progress 1
		.amdhsa_inst_pref_size 38
		.amdhsa_round_robin_scheduling 0
		.amdhsa_exception_fp_ieee_invalid_op 0
		.amdhsa_exception_fp_denorm_src 0
		.amdhsa_exception_fp_ieee_div_zero 0
		.amdhsa_exception_fp_ieee_overflow 0
		.amdhsa_exception_fp_ieee_underflow 0
		.amdhsa_exception_fp_ieee_inexact 0
		.amdhsa_exception_int_div_zero 0
	.end_amdhsa_kernel
	.section	.text._Z18ssm_scan_f32_groupILi8ELi256EEvPKfS1_S1_S1_S1_S1_PKiPfiiiiiiiiiiilllll,"axG",@progbits,_Z18ssm_scan_f32_groupILi8ELi256EEvPKfS1_S1_S1_S1_S1_PKiPfiiiiiiiiiiilllll,comdat
.Lfunc_end1:
	.size	_Z18ssm_scan_f32_groupILi8ELi256EEvPKfS1_S1_S1_S1_S1_PKiPfiiiiiiiiiiilllll, .Lfunc_end1-_Z18ssm_scan_f32_groupILi8ELi256EEvPKfS1_S1_S1_S1_S1_PKiPfiiiiiiiiiiilllll
                                        ; -- End function
	.set _Z18ssm_scan_f32_groupILi8ELi256EEvPKfS1_S1_S1_S1_S1_PKiPfiiiiiiiiiiilllll.num_vgpr, 56
	.set _Z18ssm_scan_f32_groupILi8ELi256EEvPKfS1_S1_S1_S1_S1_PKiPfiiiiiiiiiiilllll.num_agpr, 0
	.set _Z18ssm_scan_f32_groupILi8ELi256EEvPKfS1_S1_S1_S1_S1_PKiPfiiiiiiiiiiilllll.numbered_sgpr, 54
	.set _Z18ssm_scan_f32_groupILi8ELi256EEvPKfS1_S1_S1_S1_S1_PKiPfiiiiiiiiiiilllll.num_named_barrier, 0
	.set _Z18ssm_scan_f32_groupILi8ELi256EEvPKfS1_S1_S1_S1_S1_PKiPfiiiiiiiiiiilllll.private_seg_size, 0
	.set _Z18ssm_scan_f32_groupILi8ELi256EEvPKfS1_S1_S1_S1_S1_PKiPfiiiiiiiiiiilllll.uses_vcc, 1
	.set _Z18ssm_scan_f32_groupILi8ELi256EEvPKfS1_S1_S1_S1_S1_PKiPfiiiiiiiiiiilllll.uses_flat_scratch, 0
	.set _Z18ssm_scan_f32_groupILi8ELi256EEvPKfS1_S1_S1_S1_S1_PKiPfiiiiiiiiiiilllll.has_dyn_sized_stack, 0
	.set _Z18ssm_scan_f32_groupILi8ELi256EEvPKfS1_S1_S1_S1_S1_PKiPfiiiiiiiiiiilllll.has_recursion, 0
	.set _Z18ssm_scan_f32_groupILi8ELi256EEvPKfS1_S1_S1_S1_S1_PKiPfiiiiiiiiiiilllll.has_indirect_call, 0
	.section	.AMDGPU.csdata,"",@progbits
; Kernel info:
; codeLenInByte = 4752
; TotalNumSgprs: 56
; NumVgprs: 56
; ScratchSize: 0
; MemoryBound: 0
; FloatMode: 240
; IeeeMode: 1
; LDSByteSize: 0 bytes/workgroup (compile time only)
; SGPRBlocks: 0
; VGPRBlocks: 3
; NumSGPRsForWavesPerEU: 56
; NumVGPRsForWavesPerEU: 56
; NamedBarCnt: 0
; Occupancy: 16
; WaveLimiterHint : 1
; COMPUTE_PGM_RSRC2:SCRATCH_EN: 0
; COMPUTE_PGM_RSRC2:USER_SGPR: 2
; COMPUTE_PGM_RSRC2:TRAP_HANDLER: 0
; COMPUTE_PGM_RSRC2:TGID_X_EN: 1
; COMPUTE_PGM_RSRC2:TGID_Y_EN: 1
; COMPUTE_PGM_RSRC2:TGID_Z_EN: 0
; COMPUTE_PGM_RSRC2:TIDIG_COMP_CNT: 0
	.section	.text._Z12ssm_scan_f32ILm128ELm16ELm1EEvPKfS1_S1_S1_S1_S1_PKiPfiiiiiiiiiiilll,"axG",@progbits,_Z12ssm_scan_f32ILm128ELm16ELm1EEvPKfS1_S1_S1_S1_S1_PKiPfiiiiiiiiiiilll,comdat
	.protected	_Z12ssm_scan_f32ILm128ELm16ELm1EEvPKfS1_S1_S1_S1_S1_PKiPfiiiiiiiiiiilll ; -- Begin function _Z12ssm_scan_f32ILm128ELm16ELm1EEvPKfS1_S1_S1_S1_S1_PKiPfiiiiiiiiiiilll
	.globl	_Z12ssm_scan_f32ILm128ELm16ELm1EEvPKfS1_S1_S1_S1_S1_PKiPfiiiiiiiiiiilll
	.p2align	8
	.type	_Z12ssm_scan_f32ILm128ELm16ELm1EEvPKfS1_S1_S1_S1_S1_PKiPfiiiiiiiiiiilll,@function
_Z12ssm_scan_f32ILm128ELm16ELm1EEvPKfS1_S1_S1_S1_S1_PKiPfiiiiiiiiiiilll: ; @_Z12ssm_scan_f32ILm128ELm16ELm1EEvPKfS1_S1_S1_S1_S1_PKiPfiiiiiiiiiiilll
; %bb.0:
	s_clause 0x2
	s_load_b512 s[4:19], s[0:1], 0x0
	s_load_b64 s[22:23], s[0:1], 0x54
	s_load_b64 s[2:3], s[0:1], 0x40
	s_bfe_u32 s21, ttmp6, 0x4000c
	s_bfe_u32 s24, ttmp6, 0x40010
	s_add_co_i32 s21, s21, 1
	s_add_co_i32 s24, s24, 1
	s_and_b32 s20, ttmp6, 15
	s_bfe_u32 s25, ttmp6, 0x40004
	s_mul_i32 s21, ttmp9, s21
	s_mul_i32 s24, ttmp7, s24
	s_getreg_b32 s26, hwreg(HW_REG_IB_STS2, 6, 4)
	s_add_co_i32 s20, s20, s21
	s_add_co_i32 s25, s25, s24
	s_cmp_eq_u32 s26, 0
	s_mov_b32 s21, 0
	s_cselect_b32 s20, ttmp9, s20
	s_cselect_b32 s24, ttmp7, s25
	s_mov_b32 s25, s21
	v_mov_b32_e32 v35, 0
	s_wait_kmcnt 0x0
	s_load_b32 s28, s[16:17], s20 offset:0x0 scale_offset
	s_wait_xcnt 0x0
	s_ashr_i32 s16, s23, 2
	s_ashr_i32 s27, s23, 31
	v_mul_lo_u32 v34, s16, v0
	s_lshl_b64 s[16:17], s[24:25], 7
	s_mov_b32 s26, s23
	s_ashr_i32 s23, s2, 2
	s_mul_u64 s[26:27], s[16:17], s[26:27]
	s_delay_alu instid0(SALU_CYCLE_1)
	s_add_nc_u64 s[10:11], s[10:11], s[26:27]
	s_delay_alu instid0(VALU_DEP_1) | instid1(SALU_CYCLE_1)
	v_lshl_add_u64 v[36:37], v[34:35], 2, s[10:11]
	v_mul_lo_u32 v34, s23, v0
	s_ashr_i32 s11, s2, 31
	s_mov_b32 s10, s2
	s_mov_b32 s2, exec_lo
	s_mul_u64 s[16:17], s[16:17], s[10:11]
	s_wait_kmcnt 0x0
	s_mul_i32 s26, s28, s3
	s_delay_alu instid0(SALU_CYCLE_1) | instskip(NEXT) | instid1(SALU_CYCLE_1)
	s_ashr_i32 s27, s26, 31
	s_add_nc_u64 s[4:5], s[4:5], s[26:27]
	s_delay_alu instid0(SALU_CYCLE_1)
	s_add_nc_u64 s[4:5], s[4:5], s[16:17]
	s_delay_alu instid0(VALU_DEP_1) | instid1(SALU_CYCLE_1)
	v_lshl_add_u64 v[38:39], v[34:35], 2, s[4:5]
	s_clause 0x3
	global_load_b128 v[18:21], v[36:37], off offset:48
	global_load_b128 v[22:25], v[36:37], off offset:32
	global_load_b128 v[26:29], v[36:37], off offset:16
	global_load_b128 v[30:33], v[36:37], off
	s_clause 0x3
	global_load_b128 v[2:5], v[38:39], off offset:48
	global_load_b128 v[6:9], v[38:39], off offset:32
	;; [unrolled: 1-line block ×3, first 2 shown]
	global_load_b128 v[14:17], v[38:39], off
	s_wait_xcnt 0x0
	v_cmpx_gt_u32_e32 16, v0
	s_cbranch_execz .LBB2_2
; %bb.1:
	s_clause 0x1
	s_load_b32 s4, s[0:1], 0x60
	s_load_b32 s23, s[0:1], 0x68
	s_mov_b32 s11, s21
	s_mov_b32 s5, s21
	v_lshlrev_b32_e32 v37, 2, v0
	s_wait_kmcnt 0x0
	s_mul_i32 s10, s4, s20
	s_mul_i32 s4, s23, s20
	s_add_nc_u64 s[10:11], s[12:13], s[10:11]
	s_add_nc_u64 s[4:5], s[14:15], s[4:5]
	s_clause 0x1
	global_load_b32 v1, v0, s[10:11] scale_offset
	global_load_b32 v36, v0, s[4:5] scale_offset
	s_wait_loadcnt 0x0
	ds_store_2addr_b32 v37, v1, v36 offset1:16
.LBB2_2:
	s_or_b32 exec_lo, exec_lo, s2
	s_mul_i32 s10, s22, s20
	s_mov_b32 s11, s21
	s_lshl_b64 s[4:5], s[24:25], 9
	s_add_nc_u64 s[8:9], s[8:9], s[10:11]
	s_wait_loadcnt_dscnt 0x0
	s_add_nc_u64 s[8:9], s[8:9], s[4:5]
	s_barrier_signal -1
	s_barrier_wait -1
	global_load_b32 v1, v0, s[8:9] scale_offset
	s_mov_b32 s2, exec_lo
	s_wait_loadcnt 0x0
	v_cmpx_ge_f32_e32 0x41a00000, v1
	s_cbranch_execz .LBB2_4
; %bb.3:
	v_mul_f32_e32 v36, 0x3fb8aa3b, v1
	v_cmp_ngt_f32_e32 vcc_lo, 0xc2ce8ed0, v1
	s_mov_b32 s8, 0x3e9b6dac
	s_delay_alu instid0(VALU_DEP_2) | instskip(SKIP_1) | instid1(VALU_DEP_2)
	v_rndne_f32_e32 v37, v36
	v_fma_f32 v38, 0x3fb8aa3b, v1, -v36
	v_sub_f32_e32 v36, v36, v37
	s_delay_alu instid0(VALU_DEP_2) | instskip(SKIP_1) | instid1(VALU_DEP_2)
	v_fmamk_f32 v38, v1, 0x32a5705f, v38
	v_cvt_i32_f32_e32 v37, v37
	v_add_f32_e32 v36, v36, v38
	s_delay_alu instid0(VALU_DEP_1) | instskip(SKIP_1) | instid1(TRANS32_DEP_1)
	v_exp_f32_e32 v36, v36
	v_nop
	v_ldexp_f32 v36, v36, v37
	s_delay_alu instid0(VALU_DEP_1) | instskip(SKIP_1) | instid1(VALU_DEP_2)
	v_cndmask_b32_e32 v36, 0, v36, vcc_lo
	v_cmp_nlt_f32_e32 vcc_lo, 0x42b17218, v1
	v_cndmask_b32_e32 v52, 0x7f800000, v36, vcc_lo
	s_delay_alu instid0(VALU_DEP_1) | instskip(NEXT) | instid1(VALU_DEP_1)
	v_add_f32_e32 v1, 1.0, v52
	v_cvt_f64_f32_e32 v[36:37], v1
	s_delay_alu instid0(VALU_DEP_1) | instskip(SKIP_1) | instid1(VALU_DEP_1)
	v_frexp_exp_i32_f64_e32 v36, v[36:37]
	v_frexp_mant_f32_e32 v37, v1
	v_cmp_gt_f32_e32 vcc_lo, 0x3f2aaaab, v37
	s_delay_alu instid0(VALU_DEP_3) | instskip(NEXT) | instid1(VALU_DEP_1)
	v_subrev_co_ci_u32_e64 v42, null, 0, v36, vcc_lo
	v_dual_add_f32 v36, -1.0, v1 :: v_dual_sub_nc_u32 v37, 0, v42
	s_delay_alu instid0(VALU_DEP_1) | instskip(NEXT) | instid1(VALU_DEP_2)
	v_sub_f32_e32 v38, v36, v1
	v_ldexp_f32 v1, v1, v37
	s_delay_alu instid0(VALU_DEP_1) | instskip(SKIP_2) | instid1(VALU_DEP_2)
	v_dual_add_f32 v38, 1.0, v38 :: v_dual_add_f32 v39, 1.0, v1
	v_dual_add_f32 v41, -1.0, v1 :: v_dual_sub_f32 v36, v52, v36
	v_cmp_neq_f32_e32 vcc_lo, 0x7f800000, v52
	v_dual_add_f32 v36, v36, v38 :: v_dual_add_f32 v38, -1.0, v39
	s_delay_alu instid0(VALU_DEP_1) | instskip(NEXT) | instid1(VALU_DEP_2)
	v_ldexp_f32 v36, v36, v37
	v_dual_sub_f32 v37, v1, v38 :: v_dual_add_f32 v38, 1.0, v41
	s_delay_alu instid0(VALU_DEP_1) | instskip(NEXT) | instid1(VALU_DEP_1)
	v_dual_add_f32 v40, v36, v37 :: v_dual_sub_f32 v1, v1, v38
	v_dual_add_f32 v43, v39, v40 :: v_dual_add_f32 v1, v36, v1
	s_delay_alu instid0(VALU_DEP_1) | instskip(SKIP_1) | instid1(VALU_DEP_2)
	v_sub_f32_e32 v36, v39, v43
	v_rcp_f32_e32 v44, v43
	v_add_f32_e32 v37, v41, v1
	s_delay_alu instid0(TRANS32_DEP_1) | instid1(VALU_DEP_1)
	v_mul_f32_e32 v45, v37, v44
	s_delay_alu instid0(VALU_DEP_3) | instskip(NEXT) | instid1(VALU_DEP_1)
	v_dual_add_f32 v46, v40, v36 :: v_dual_sub_f32 v47, v41, v37
	v_dual_mul_f32 v38, v43, v45 :: v_dual_add_f32 v1, v1, v47
	s_delay_alu instid0(VALU_DEP_1) | instskip(NEXT) | instid1(VALU_DEP_1)
	v_fma_f32 v40, v45, v43, -v38
	v_fmac_f32_e32 v40, v45, v46
	s_delay_alu instid0(VALU_DEP_1) | instskip(NEXT) | instid1(VALU_DEP_1)
	v_add_f32_e32 v36, v38, v40
	v_dual_sub_f32 v39, v37, v36 :: v_dual_mov_b32 v41, v36
	s_delay_alu instid0(VALU_DEP_1) | instskip(NEXT) | instid1(VALU_DEP_1)
	v_pk_add_f32 v[36:37], v[36:37], v[38:39] neg_lo:[0,1] neg_hi:[0,1]
	v_pk_add_f32 v[36:37], v[36:37], v[40:41] neg_lo:[0,1] neg_hi:[0,1]
	s_delay_alu instid0(VALU_DEP_1) | instskip(NEXT) | instid1(VALU_DEP_1)
	v_add_f32_e32 v1, v1, v37
	v_add_f32_e32 v1, v36, v1
	s_delay_alu instid0(VALU_DEP_1) | instskip(NEXT) | instid1(VALU_DEP_1)
	v_add_f32_e32 v37, v39, v1
	v_mul_f32_e32 v47, v44, v37
	s_delay_alu instid0(VALU_DEP_1) | instskip(NEXT) | instid1(VALU_DEP_1)
	v_mul_f32_e32 v40, v43, v47
	v_fma_f32 v38, v47, v43, -v40
	s_delay_alu instid0(VALU_DEP_1) | instskip(NEXT) | instid1(VALU_DEP_1)
	v_fmac_f32_e32 v38, v47, v46
	v_dual_add_f32 v36, v40, v38 :: v_dual_sub_f32 v43, v39, v37
	s_delay_alu instid0(VALU_DEP_1) | instskip(NEXT) | instid1(VALU_DEP_1)
	v_dual_sub_f32 v41, v37, v36 :: v_dual_mov_b32 v39, v36
	v_pk_add_f32 v[36:37], v[36:37], v[40:41] neg_lo:[0,1] neg_hi:[0,1]
	s_delay_alu instid0(VALU_DEP_1) | instskip(SKIP_3) | instid1(VALU_DEP_2)
	v_pk_add_f32 v[36:37], v[36:37], v[38:39] neg_lo:[0,1] neg_hi:[0,1]
	v_add_f32_e32 v40, v45, v47
	v_add_f32_e32 v1, v1, v43
	v_cvt_f32_i32_e32 v38, v42
	v_add_f32_e32 v1, v1, v37
	s_delay_alu instid0(VALU_DEP_1) | instskip(SKIP_1) | instid1(VALU_DEP_1)
	v_add_f32_e32 v1, v36, v1
	v_sub_f32_e32 v36, v40, v45
	v_dual_add_f32 v1, v41, v1 :: v_dual_sub_f32 v36, v47, v36
	s_delay_alu instid0(VALU_DEP_1) | instskip(NEXT) | instid1(VALU_DEP_1)
	v_mul_f32_e32 v1, v44, v1
	v_dual_add_f32 v1, v36, v1 :: v_dual_mov_b32 v36, 0x3f317218
	s_delay_alu instid0(VALU_DEP_1) | instskip(NEXT) | instid1(VALU_DEP_1)
	v_add_f32_e32 v41, v40, v1
	v_mul_f32_e32 v37, v41, v41
	s_delay_alu instid0(VALU_DEP_1) | instskip(SKIP_1) | instid1(VALU_DEP_2)
	v_fmaak_f32 v43, s8, v37, 0x3ecc95a3
	v_mul_f32_e32 v39, v41, v37
	v_fmaak_f32 v37, v37, v43, 0x3f2aaada
	s_delay_alu instid0(VALU_DEP_1) | instskip(NEXT) | instid1(VALU_DEP_1)
	v_pk_mul_f32 v[36:37], v[38:39], v[36:37]
	v_fma_f32 v42, 0x3f317218, v38, -v36
	s_delay_alu instid0(VALU_DEP_1) | instskip(SKIP_1) | instid1(VALU_DEP_1)
	v_fmamk_f32 v38, v38, 0xb102e308, v42
	v_sub_f32_e32 v42, v41, v40
	v_sub_f32_e32 v1, v1, v42
	v_ldexp_f32 v39, v41, 1
	v_mov_b32_e32 v42, v36
	s_delay_alu instid0(VALU_DEP_3) | instskip(NEXT) | instid1(VALU_DEP_3)
	v_ldexp_f32 v1, v1, 1
	v_pk_add_f32 v[40:41], v[36:37], v[38:39]
	s_delay_alu instid0(VALU_DEP_1) | instskip(NEXT) | instid1(VALU_DEP_1)
	v_dual_sub_f32 v39, v41, v39 :: v_dual_mov_b32 v50, v41
	v_sub_f32_e32 v39, v37, v39
	s_delay_alu instid0(VALU_DEP_3) | instskip(NEXT) | instid1(VALU_DEP_2)
	v_pk_add_f32 v[36:37], v[40:41], v[36:37] neg_lo:[0,1] neg_hi:[0,1]
	v_dual_add_f32 v43, v1, v39 :: v_dual_mov_b32 v39, v40
	s_delay_alu instid0(VALU_DEP_1) | instskip(NEXT) | instid1(VALU_DEP_1)
	v_pk_add_f32 v[44:45], v[40:41], v[42:43]
	v_mov_b32_e32 v37, v45
	s_delay_alu instid0(VALU_DEP_1) | instskip(SKIP_2) | instid1(VALU_DEP_3)
	v_pk_add_f32 v[46:47], v[38:39], v[36:37]
	v_mov_b32_e32 v46, v45
	v_pk_add_f32 v[36:37], v[38:39], v[36:37] neg_lo:[0,1] neg_hi:[0,1]
	v_mov_b32_e32 v42, v47
	s_delay_alu instid0(VALU_DEP_1) | instskip(SKIP_1) | instid1(VALU_DEP_2)
	v_pk_add_f32 v[48:49], v[42:43], v[40:41] neg_lo:[0,1] neg_hi:[0,1]
	v_dual_mov_b32 v41, v40 :: v_dual_mov_b32 v40, v43
	v_dual_mov_b32 v51, v48 :: v_dual_mov_b32 v1, v48
	s_delay_alu instid0(VALU_DEP_1) | instskip(NEXT) | instid1(VALU_DEP_2)
	v_pk_add_f32 v[48:49], v[46:47], v[50:51] neg_lo:[0,1] neg_hi:[0,1]
	v_pk_add_f32 v[38:39], v[44:45], v[0:1] neg_lo:[0,1] neg_hi:[0,1]
	v_mov_b32_e32 v38, v36
	s_delay_alu instid0(VALU_DEP_3) | instskip(NEXT) | instid1(VALU_DEP_1)
	v_pk_add_f32 v[40:41], v[40:41], v[48:49] neg_lo:[0,1] neg_hi:[0,1]
	v_pk_add_f32 v[38:39], v[38:39], v[40:41]
	s_delay_alu instid0(VALU_DEP_1) | instskip(NEXT) | instid1(VALU_DEP_1)
	v_mov_b32_e32 v44, v39
	v_pk_add_f32 v[44:45], v[38:39], v[44:45]
	s_delay_alu instid0(VALU_DEP_1) | instskip(NEXT) | instid1(VALU_DEP_1)
	v_pk_add_f32 v[42:43], v[42:43], v[44:45]
	v_dual_mov_b32 v37, v47 :: v_dual_mov_b32 v39, v42
	s_delay_alu instid0(VALU_DEP_1) | instskip(NEXT) | instid1(VALU_DEP_1)
	v_pk_add_f32 v[46:47], v[38:39], v[36:37] neg_lo:[0,1] neg_hi:[0,1]
	v_dual_mov_b32 v41, v44 :: v_dual_sub_f32 v1, v38, v46
	s_delay_alu instid0(VALU_DEP_1) | instskip(NEXT) | instid1(VALU_DEP_2)
	v_pk_add_f32 v[38:39], v[40:41], v[46:47] neg_lo:[0,1] neg_hi:[0,1]
	v_sub_f32_e32 v1, v36, v1
	s_delay_alu instid0(VALU_DEP_1) | instskip(NEXT) | instid1(VALU_DEP_1)
	v_add_f32_e32 v1, v38, v1
	v_add_f32_e32 v1, v1, v39
	s_delay_alu instid0(VALU_DEP_1) | instskip(NEXT) | instid1(VALU_DEP_1)
	v_add_f32_e32 v1, v42, v1
	v_cndmask_b32_e32 v1, 0x7f800000, v1, vcc_lo
	v_cmp_gt_f32_e32 vcc_lo, 0x33800000, v52
	s_delay_alu instid0(VALU_DEP_2)
	v_cndmask_b32_e32 v1, v1, v52, vcc_lo
.LBB2_4:
	s_or_b32 exec_lo, exec_lo, s2
	s_clause 0x1
	s_load_b32 s2, s[0:1], 0x4c
	s_load_b128 s[8:11], s[0:1], 0x70
	s_wait_xcnt 0x0
	s_mov_b32 s1, 0
	v_dual_mul_f32 v30, v1, v30 :: v_dual_mov_b32 v37, 0
	v_dual_mul_f32 v31, v1, v31 :: v_dual_mul_f32 v32, v1, v32
	v_dual_mul_f32 v33, v1, v33 :: v_dual_mul_f32 v38, v1, v26
	;; [unrolled: 1-line block ×4, first 2 shown]
	s_delay_alu instid0(VALU_DEP_4) | instskip(NEXT) | instid1(VALU_DEP_4)
	v_dual_mul_f32 v50, v1, v21 :: v_dual_mul_f32 v19, 0x3fb8aa3b, v31
	v_dual_mul_f32 v18, 0x3fb8aa3b, v30 :: v_dual_mul_f32 v21, 0x3fb8aa3b, v33
	;; [unrolled: 1-line block ×4, first 2 shown]
	s_wait_kmcnt 0x0
	s_mul_i32 s0, s2, s20
	v_dual_mul_f32 v44, v1, v23 :: v_dual_mul_f32 v45, v1, v24
	s_add_nc_u64 s[6:7], s[6:7], s[0:1]
	v_fma_f32 v22, 0x3fb8aa3b, v30, -v18
	s_add_nc_u64 s[6:7], s[6:7], s[4:5]
	v_rndne_f32_e32 v23, v18
	global_load_b32 v36, v0, s[6:7] scale_offset
	v_fma_f32 v24, 0x3fb8aa3b, v31, -v19
	v_rndne_f32_e32 v25, v19
	v_fma_f32 v28, 0x3fb8aa3b, v33, -v21
	v_rndne_f32_e32 v29, v21
	v_dual_mul_f32 v20, 0x3fb8aa3b, v32 :: v_dual_mul_f32 v51, 0x3fb8aa3b, v38
	s_delay_alu instid0(VALU_DEP_4) | instskip(NEXT) | instid1(VALU_DEP_3)
	v_dual_fmac_f32 v22, 0x32a5705f, v30 :: v_dual_sub_f32 v19, v19, v25
	v_dual_sub_f32 v18, v18, v23 :: v_dual_sub_f32 v21, v21, v29
	v_fmac_f32_e32 v28, 0x32a5705f, v33
	v_fmac_f32_e32 v24, 0x32a5705f, v31
	v_rndne_f32_e32 v27, v20
	v_fma_f32 v26, 0x3fb8aa3b, v32, -v20
	s_delay_alu instid0(VALU_DEP_4) | instskip(NEXT) | instid1(VALU_DEP_3)
	v_dual_add_f32 v18, v18, v22 :: v_dual_add_f32 v21, v21, v28
	v_dual_add_f32 v19, v19, v24 :: v_dual_sub_f32 v20, v20, v27
	v_cvt_i32_f32_e32 v22, v25
	s_delay_alu instid0(VALU_DEP_3) | instskip(SKIP_1) | instid1(VALU_DEP_3)
	v_exp_f32_e32 v18, v18
	v_cvt_i32_f32_e32 v23, v23
	v_exp_f32_e32 v19, v19
	v_cvt_i32_f32_e32 v24, v27
	v_cmp_ngt_f32_e32 vcc_lo, 0xc2ce8ed0, v31
	v_cmp_ngt_f32_e64 s0, 0xc2ce8ed0, v30
	v_exp_f32_e32 v21, v21
	v_cvt_i32_f32_e32 v25, v29
	v_dual_mul_f32 v52, 0x3fb8aa3b, v39 :: v_dual_mul_f32 v53, 0x3fb8aa3b, v41
	v_ldexp_f32 v27, v19, v22
	v_fmac_f32_e32 v26, 0x32a5705f, v32
	v_dual_mul_f32 v54, 0x3fb8aa3b, v42 :: v_dual_mul_f32 v55, 0x3fb8aa3b, v43
	s_delay_alu instid0(TRANS32_DEP_1) | instskip(NEXT) | instid1(VALU_DEP_3)
	v_ldexp_f32 v29, v21, v25
	v_dual_cndmask_b32 v27, 0, v27 :: v_dual_add_f32 v20, v20, v26
	v_ldexp_f32 v26, v18, v23
	v_cmp_nlt_f32_e32 vcc_lo, 0x42b17218, v31
	v_fma_f32 v31, 0x3fb8aa3b, v38, -v51
	v_dual_mul_f32 v56, 0x3fb8aa3b, v44 :: v_dual_mul_f32 v57, 0x3fb8aa3b, v45
	s_delay_alu instid0(VALU_DEP_4)
	v_cndmask_b32_e64 v26, 0, v26, s0
	v_exp_f32_e32 v20, v20
	v_cmp_ngt_f32_e64 s0, 0xc2ce8ed0, v32
	v_cndmask_b32_e32 v27, 0x7f800000, v27, vcc_lo
	v_cmp_nlt_f32_e32 vcc_lo, 0x42b17218, v32
	v_rndne_f32_e32 v32, v52
	v_dual_mul_f32 v58, 0x3fb8aa3b, v46 :: v_dual_mul_f32 v59, 0x3fb8aa3b, v47
	s_delay_alu instid0(TRANS32_DEP_1)
	v_ldexp_f32 v28, v20, v24
	ds_load_b128 v[18:21], v37
	ds_load_b128 v[22:25], v37 offset:16
	s_add_nc_u64 s[8:9], s[18:19], s[8:9]
	s_wait_xcnt 0x0
	s_mul_u64 s[6:7], s[20:21], s[10:11]
	v_cndmask_b32_e64 v28, 0, v28, s0
	v_cmp_ngt_f32_e64 s0, 0xc2ce8ed0, v33
	s_delay_alu instid0(VALU_DEP_1) | instskip(SKIP_2) | instid1(VALU_DEP_2)
	v_cndmask_b32_e64 v29, 0, v29, s0
	v_cmp_nlt_f32_e64 s0, 0x42b17218, v30
	v_fma_f32 v30, 0x3fb8aa3b, v39, -v52
	v_cndmask_b32_e64 v26, 0x7f800000, v26, s0
	s_delay_alu instid0(VALU_DEP_2)
	v_fmac_f32_e32 v30, 0x32a5705f, v39
	v_cmp_nlt_f32_e64 s0, 0x42b17218, v38
	s_wait_loadcnt 0x0
	v_mul_f32_e32 v40, v1, v36
	v_rndne_f32_e32 v1, v51
	v_fmac_f32_e32 v31, 0x32a5705f, v38
	v_rndne_f32_e32 v36, v56
	s_wait_dscnt 0x1
	v_pk_mul_f32 v[18:19], v[40:41], v[18:19] op_sel_hi:[0,1]
	v_pk_mul_f32 v[20:21], v[40:41], v[20:21] op_sel_hi:[0,1]
	s_delay_alu instid0(VALU_DEP_2)
	v_pk_fma_f32 v[14:15], v[14:15], v[26:27], v[18:19]
	v_rndne_f32_e32 v19, v53
	v_cndmask_b32_e32 v28, 0x7f800000, v28, vcc_lo
	v_cmp_nlt_f32_e32 vcc_lo, 0x42b17218, v33
	v_fma_f32 v18, 0x3fb8aa3b, v41, -v53
	v_rndne_f32_e32 v27, v55
	v_fma_f32 v26, 0x3fb8aa3b, v43, -v55
	v_fma_f32 v33, 0x3fb8aa3b, v44, -v56
	v_cndmask_b32_e32 v29, 0x7f800000, v29, vcc_lo
	v_fmac_f32_e32 v18, 0x32a5705f, v41
	v_cmp_ngt_f32_e32 vcc_lo, 0xc2ce8ed0, v38
	s_delay_alu instid0(VALU_DEP_4) | instskip(NEXT) | instid1(VALU_DEP_4)
	v_fmac_f32_e32 v33, 0x32a5705f, v44
	v_pk_fma_f32 v[16:17], v[16:17], v[28:29], v[20:21]
	v_fma_f32 v20, 0x3fb8aa3b, v42, -v54
	v_rndne_f32_e32 v21, v54
	v_dual_sub_f32 v28, v51, v1 :: v_dual_sub_f32 v29, v52, v32
	s_delay_alu instid0(VALU_DEP_3) | instskip(SKIP_1) | instid1(VALU_DEP_3)
	v_dual_sub_f32 v51, v53, v19 :: v_dual_fmac_f32 v20, 0x32a5705f, v42
	v_sub_f32_e32 v53, v55, v27
	v_add_f32_e32 v28, v28, v31
	v_fma_f32 v31, 0x3fb8aa3b, v45, -v57
	s_delay_alu instid0(VALU_DEP_4) | instskip(SKIP_2) | instid1(VALU_DEP_4)
	v_dual_sub_f32 v52, v54, v21 :: v_dual_add_f32 v18, v51, v18
	v_dual_mul_f32 v60, 0x3fb8aa3b, v48 :: v_dual_add_f32 v29, v29, v30
	v_rndne_f32_e32 v30, v57
	v_dual_fmac_f32 v26, 0x32a5705f, v43 :: v_dual_fmac_f32 v31, 0x32a5705f, v45
	v_fma_f32 v51, 0x3fb8aa3b, v46, -v58
	v_add_f32_e32 v20, v52, v20
	v_rndne_f32_e32 v52, v58
	v_dual_sub_f32 v54, v56, v36 :: v_dual_sub_f32 v55, v57, v30
	v_add_f32_e32 v26, v53, v26
	v_fma_f32 v53, 0x3fb8aa3b, v47, -v59
	s_delay_alu instid0(VALU_DEP_4) | instskip(NEXT) | instid1(VALU_DEP_4)
	v_dual_fmac_f32 v51, 0x32a5705f, v46 :: v_dual_sub_f32 v56, v58, v52
	v_dual_add_f32 v33, v54, v33 :: v_dual_add_f32 v31, v55, v31
	v_rndne_f32_e32 v54, v59
	v_fma_f32 v55, 0x3fb8aa3b, v48, -v60
	s_delay_alu instid0(VALU_DEP_4)
	v_add_f32_e32 v51, v56, v51
	v_rndne_f32_e32 v56, v60
	v_fmac_f32_e32 v53, 0x32a5705f, v47
	v_sub_f32_e32 v57, v59, v54
	v_fmac_f32_e32 v55, 0x32a5705f, v48
	v_exp_f32_e32 v28, v28
	v_sub_f32_e32 v58, v60, v56
	v_cvt_i32_f32_e32 v1, v1
	v_add_f32_e32 v53, v57, v53
	v_mul_f32_e32 v57, 0x3fb8aa3b, v49
	v_exp_f32_e32 v18, v18
	v_add_f32_e32 v55, v58, v55
	v_ldexp_f32 v1, v28, v1
	v_exp_f32_e32 v28, v29
	v_fma_f32 v58, 0x3fb8aa3b, v49, -v57
	v_rndne_f32_e32 v59, v57
	v_exp_f32_e32 v20, v20
	v_cvt_i32_f32_e32 v29, v32
	v_cvt_i32_f32_e32 v19, v19
	s_delay_alu instid0(VALU_DEP_3) | instskip(SKIP_1) | instid1(VALU_DEP_4)
	v_dual_fmac_f32 v58, 0x32a5705f, v49 :: v_dual_sub_f32 v57, v57, v59
	v_cvt_i32_f32_e32 v21, v21
	v_ldexp_f32 v28, v28, v29
	v_exp_f32_e32 v29, v33
	v_cvt_i32_f32_e32 v32, v36
	v_add_f32_e32 v57, v57, v58
	v_mul_f32_e32 v58, 0x3fb8aa3b, v50
	v_ldexp_f32 v33, v18, v19
	v_ldexp_f32 v36, v20, v21
	ds_load_b128 v[18:21], v37 offset:64
	v_exp_f32_e32 v26, v26
	v_fma_f32 v60, 0x3fb8aa3b, v50, -v58
	v_rndne_f32_e32 v61, v58
	v_cvt_i32_f32_e32 v27, v27
	v_cndmask_b32_e32 v1, 0, v1, vcc_lo
	v_cmp_ngt_f32_e32 vcc_lo, 0xc2ce8ed0, v39
	v_fmac_f32_e32 v60, 0x32a5705f, v50
	v_sub_f32_e32 v58, v58, v61
	v_exp_f32_e32 v31, v31
	v_cvt_i32_f32_e32 v30, v30
	v_ldexp_f32 v62, v29, v32
	v_cvt_i32_f32_e32 v38, v54
	v_add_f32_e32 v58, v58, v60
	v_ldexp_f32 v60, v26, v27
	v_cndmask_b32_e32 v27, 0, v28, vcc_lo
	v_cmp_ngt_f32_e32 vcc_lo, 0xc2ce8ed0, v41
	v_ldexp_f32 v63, v31, v30
	v_cndmask_b32_e64 v26, 0x7f800000, v1, s0
	s_wait_dscnt 0x1
	v_pk_mul_f32 v[28:29], v[40:41], v[22:23] op_sel_hi:[0,1]
	v_pk_mul_f32 v[30:31], v[40:41], v[24:25] op_sel_hi:[0,1]
	v_cndmask_b32_e32 v32, 0, v33, vcc_lo
	v_cmp_ngt_f32_e32 vcc_lo, 0xc2ce8ed0, v42
	ds_load_b128 v[22:25], v37 offset:80
	s_wait_dscnt 0x1
	v_fma_f32 v1, v18, v14, 0
	v_cmp_nlt_f32_e64 s0, 0x42b17218, v39
	v_exp_f32_e32 v54, v58
	v_cndmask_b32_e32 v33, 0, v36, vcc_lo
	v_cmp_nlt_f32_e32 vcc_lo, 0x42b17218, v42
	v_fmac_f32_e32 v1, v19, v15
	v_cndmask_b32_e64 v27, 0x7f800000, v27, s0
	v_cmp_nlt_f32_e64 s0, 0x42b17218, v41
	v_exp_f32_e32 v42, v53
	v_cndmask_b32_e32 v33, 0x7f800000, v33, vcc_lo
	v_fmac_f32_e32 v1, v20, v16
	v_pk_fma_f32 v[10:11], v[10:11], v[26:27], v[28:29]
	v_cmp_ngt_f32_e32 vcc_lo, 0xc2ce8ed0, v43
	v_exp_f32_e32 v53, v57
	v_cndmask_b32_e64 v32, 0x7f800000, v32, s0
	v_fmac_f32_e32 v1, v21, v17
	v_cvt_i32_f32_e32 v36, v52
	v_exp_f32_e32 v41, v51
	v_exp_f32_e32 v51, v55
	v_cvt_i32_f32_e32 v52, v59
	v_cvt_i32_f32_e32 v55, v61
	s_wait_dscnt 0x0
	v_dual_fmac_f32 v1, v22, v10 :: v_dual_cndmask_b32 v22, 0, v60
	v_cmp_ngt_f32_e32 vcc_lo, 0xc2ce8ed0, v44
	v_pk_fma_f32 v[12:13], v[12:13], v[32:33], v[30:31]
	ds_load_b128 v[26:29], v37 offset:96
	ds_load_b128 v[30:33], v37 offset:112
	;; [unrolled: 1-line block ×3, first 2 shown]
	v_ldexp_f32 v52, v53, v52
	v_ldexp_f32 v53, v54, v55
	v_cndmask_b32_e32 v54, 0, v62, vcc_lo
	v_cmp_nlt_f32_e32 vcc_lo, 0x42b17218, v43
	v_fmac_f32_e32 v1, v23, v11
	v_ldexp_f32 v41, v41, v36
	v_cvt_i32_f32_e32 v39, v56
	v_ldexp_f32 v42, v42, v38
	v_cndmask_b32_e32 v22, 0x7f800000, v22, vcc_lo
	v_cmp_nlt_f32_e32 vcc_lo, 0x42b17218, v44
	v_fmac_f32_e32 v1, v24, v12
	v_ldexp_f32 v51, v51, v39
	ds_load_b128 v[36:39], v37 offset:48
	s_mul_i32 s0, s3, s20
	v_cndmask_b32_e32 v23, 0x7f800000, v54, vcc_lo
	v_cmp_ngt_f32_e32 vcc_lo, 0xc2ce8ed0, v45
	s_add_nc_u64 s[0:1], s[8:9], s[0:1]
	s_lshl_b64 s[2:3], s[6:7], 2
	s_add_nc_u64 s[0:1], s[0:1], s[16:17]
	s_wait_dscnt 0x1
	v_pk_mul_f32 v[18:19], v[40:41], v[18:19] op_sel_hi:[0,1]
	v_cndmask_b32_e32 v24, 0, v63, vcc_lo
	v_cmp_ngt_f32_e32 vcc_lo, 0xc2ce8ed0, v46
	s_add_nc_u64 s[2:3], s[18:19], s[2:3]
	s_delay_alu instid0(VALU_DEP_3) | instskip(SKIP_4) | instid1(VALU_DEP_3)
	v_pk_fma_f32 v[6:7], v[6:7], v[22:23], v[18:19]
	s_add_nc_u64 s[2:3], s[2:3], s[4:5]
	v_cndmask_b32_e32 v41, 0, v41, vcc_lo
	v_cmp_nlt_f32_e32 vcc_lo, 0x42b17218, v45
	v_fmac_f32_e32 v1, v25, v13
	v_pk_mul_f32 v[20:21], v[40:41], v[20:21] op_sel_hi:[0,1]
	v_cndmask_b32_e32 v18, 0x7f800000, v24, vcc_lo
	v_cmp_nlt_f32_e32 vcc_lo, 0x42b17218, v46
	v_cndmask_b32_e32 v19, 0x7f800000, v41, vcc_lo
	v_cmp_ngt_f32_e32 vcc_lo, 0xc2ce8ed0, v47
	s_delay_alu instid0(VALU_DEP_2)
	v_pk_fma_f32 v[8:9], v[8:9], v[18:19], v[20:21]
	v_cndmask_b32_e32 v22, 0, v42, vcc_lo
	v_cmp_ngt_f32_e32 vcc_lo, 0xc2ce8ed0, v48
	v_fmac_f32_e32 v1, v26, v6
	s_wait_dscnt 0x0
	v_pk_mul_f32 v[20:21], v[40:41], v[36:37] op_sel_hi:[0,1]
	v_cndmask_b32_e32 v23, 0, v51, vcc_lo
	v_cmp_nlt_f32_e32 vcc_lo, 0x42b17218, v47
	v_dual_fmac_f32 v1, v27, v7 :: v_dual_cndmask_b32 v18, 0x7f800000, v22
	s_delay_alu instid0(VALU_DEP_1) | instskip(SKIP_3) | instid1(VALU_DEP_2)
	v_fmac_f32_e32 v1, v28, v8
	v_cmp_nlt_f32_e32 vcc_lo, 0x42b17218, v48
	v_cndmask_b32_e32 v19, 0x7f800000, v23, vcc_lo
	v_cmp_ngt_f32_e32 vcc_lo, 0xc2ce8ed0, v49
	v_pk_fma_f32 v[2:3], v[2:3], v[18:19], v[20:21]
	v_cndmask_b32_e32 v22, 0, v52, vcc_lo
	v_cmp_ngt_f32_e32 vcc_lo, 0xc2ce8ed0, v50
	v_pk_mul_f32 v[20:21], v[40:41], v[38:39] op_sel_hi:[0,1]
	v_cndmask_b32_e32 v23, 0, v53, vcc_lo
	v_cmp_nlt_f32_e32 vcc_lo, 0x42b17218, v49
	v_dual_fmac_f32 v1, v29, v9 :: v_dual_cndmask_b32 v18, 0x7f800000, v22
	v_cmp_nlt_f32_e32 vcc_lo, 0x42b17218, v50
	s_delay_alu instid0(VALU_DEP_2) | instskip(SKIP_1) | instid1(VALU_DEP_2)
	v_fmac_f32_e32 v1, v30, v2
	v_cndmask_b32_e32 v19, 0x7f800000, v23, vcc_lo
	v_fmac_f32_e32 v1, v31, v3
	s_delay_alu instid0(VALU_DEP_2) | instskip(SKIP_1) | instid1(VALU_DEP_2)
	v_pk_fma_f32 v[4:5], v[4:5], v[18:19], v[20:21]
	v_lshl_add_u64 v[18:19], v[34:35], 2, s[0:1]
	v_fmac_f32_e32 v1, v32, v4
	s_delay_alu instid0(VALU_DEP_1)
	v_fmac_f32_e32 v1, v33, v5
	global_store_b32 v0, v1, s[2:3] scale_offset
	s_wait_storecnt 0x0
	s_barrier_signal -1
	s_barrier_wait -1
	s_clause 0x3
	global_store_b128 v[18:19], v[14:17], off
	global_store_b128 v[18:19], v[10:13], off offset:16
	global_store_b128 v[18:19], v[6:9], off offset:32
	;; [unrolled: 1-line block ×3, first 2 shown]
	s_endpgm
	.section	.rodata,"a",@progbits
	.p2align	6, 0x0
	.amdhsa_kernel _Z12ssm_scan_f32ILm128ELm16ELm1EEvPKfS1_S1_S1_S1_S1_PKiPfiiiiiiiiiiilll
		.amdhsa_group_segment_fixed_size 128
		.amdhsa_private_segment_fixed_size 0
		.amdhsa_kernarg_size 136
		.amdhsa_user_sgpr_count 2
		.amdhsa_user_sgpr_dispatch_ptr 0
		.amdhsa_user_sgpr_queue_ptr 0
		.amdhsa_user_sgpr_kernarg_segment_ptr 1
		.amdhsa_user_sgpr_dispatch_id 0
		.amdhsa_user_sgpr_kernarg_preload_length 0
		.amdhsa_user_sgpr_kernarg_preload_offset 0
		.amdhsa_user_sgpr_private_segment_size 0
		.amdhsa_wavefront_size32 1
		.amdhsa_uses_dynamic_stack 0
		.amdhsa_enable_private_segment 0
		.amdhsa_system_sgpr_workgroup_id_x 1
		.amdhsa_system_sgpr_workgroup_id_y 1
		.amdhsa_system_sgpr_workgroup_id_z 0
		.amdhsa_system_sgpr_workgroup_info 0
		.amdhsa_system_vgpr_workitem_id 0
		.amdhsa_next_free_vgpr 64
		.amdhsa_next_free_sgpr 29
		.amdhsa_named_barrier_count 0
		.amdhsa_reserve_vcc 1
		.amdhsa_float_round_mode_32 0
		.amdhsa_float_round_mode_16_64 0
		.amdhsa_float_denorm_mode_32 3
		.amdhsa_float_denorm_mode_16_64 3
		.amdhsa_fp16_overflow 0
		.amdhsa_memory_ordered 1
		.amdhsa_forward_progress 1
		.amdhsa_inst_pref_size 27
		.amdhsa_round_robin_scheduling 0
		.amdhsa_exception_fp_ieee_invalid_op 0
		.amdhsa_exception_fp_denorm_src 0
		.amdhsa_exception_fp_ieee_div_zero 0
		.amdhsa_exception_fp_ieee_overflow 0
		.amdhsa_exception_fp_ieee_underflow 0
		.amdhsa_exception_fp_ieee_inexact 0
		.amdhsa_exception_int_div_zero 0
	.end_amdhsa_kernel
	.section	.text._Z12ssm_scan_f32ILm128ELm16ELm1EEvPKfS1_S1_S1_S1_S1_PKiPfiiiiiiiiiiilll,"axG",@progbits,_Z12ssm_scan_f32ILm128ELm16ELm1EEvPKfS1_S1_S1_S1_S1_PKiPfiiiiiiiiiiilll,comdat
.Lfunc_end2:
	.size	_Z12ssm_scan_f32ILm128ELm16ELm1EEvPKfS1_S1_S1_S1_S1_PKiPfiiiiiiiiiiilll, .Lfunc_end2-_Z12ssm_scan_f32ILm128ELm16ELm1EEvPKfS1_S1_S1_S1_S1_PKiPfiiiiiiiiiiilll
                                        ; -- End function
	.set _Z12ssm_scan_f32ILm128ELm16ELm1EEvPKfS1_S1_S1_S1_S1_PKiPfiiiiiiiiiiilll.num_vgpr, 64
	.set _Z12ssm_scan_f32ILm128ELm16ELm1EEvPKfS1_S1_S1_S1_S1_PKiPfiiiiiiiiiiilll.num_agpr, 0
	.set _Z12ssm_scan_f32ILm128ELm16ELm1EEvPKfS1_S1_S1_S1_S1_PKiPfiiiiiiiiiiilll.numbered_sgpr, 29
	.set _Z12ssm_scan_f32ILm128ELm16ELm1EEvPKfS1_S1_S1_S1_S1_PKiPfiiiiiiiiiiilll.num_named_barrier, 0
	.set _Z12ssm_scan_f32ILm128ELm16ELm1EEvPKfS1_S1_S1_S1_S1_PKiPfiiiiiiiiiiilll.private_seg_size, 0
	.set _Z12ssm_scan_f32ILm128ELm16ELm1EEvPKfS1_S1_S1_S1_S1_PKiPfiiiiiiiiiiilll.uses_vcc, 1
	.set _Z12ssm_scan_f32ILm128ELm16ELm1EEvPKfS1_S1_S1_S1_S1_PKiPfiiiiiiiiiiilll.uses_flat_scratch, 0
	.set _Z12ssm_scan_f32ILm128ELm16ELm1EEvPKfS1_S1_S1_S1_S1_PKiPfiiiiiiiiiiilll.has_dyn_sized_stack, 0
	.set _Z12ssm_scan_f32ILm128ELm16ELm1EEvPKfS1_S1_S1_S1_S1_PKiPfiiiiiiiiiiilll.has_recursion, 0
	.set _Z12ssm_scan_f32ILm128ELm16ELm1EEvPKfS1_S1_S1_S1_S1_PKiPfiiiiiiiiiiilll.has_indirect_call, 0
	.section	.AMDGPU.csdata,"",@progbits
; Kernel info:
; codeLenInByte = 3440
; TotalNumSgprs: 31
; NumVgprs: 64
; ScratchSize: 0
; MemoryBound: 0
; FloatMode: 240
; IeeeMode: 1
; LDSByteSize: 128 bytes/workgroup (compile time only)
; SGPRBlocks: 0
; VGPRBlocks: 3
; NumSGPRsForWavesPerEU: 31
; NumVGPRsForWavesPerEU: 64
; NamedBarCnt: 0
; Occupancy: 16
; WaveLimiterHint : 1
; COMPUTE_PGM_RSRC2:SCRATCH_EN: 0
; COMPUTE_PGM_RSRC2:USER_SGPR: 2
; COMPUTE_PGM_RSRC2:TRAP_HANDLER: 0
; COMPUTE_PGM_RSRC2:TGID_X_EN: 1
; COMPUTE_PGM_RSRC2:TGID_Y_EN: 1
; COMPUTE_PGM_RSRC2:TGID_Z_EN: 0
; COMPUTE_PGM_RSRC2:TIDIG_COMP_CNT: 0
	.section	.text._Z12ssm_scan_f32ILm128ELm16ELm2EEvPKfS1_S1_S1_S1_S1_PKiPfiiiiiiiiiiilll,"axG",@progbits,_Z12ssm_scan_f32ILm128ELm16ELm2EEvPKfS1_S1_S1_S1_S1_PKiPfiiiiiiiiiiilll,comdat
	.protected	_Z12ssm_scan_f32ILm128ELm16ELm2EEvPKfS1_S1_S1_S1_S1_PKiPfiiiiiiiiiiilll ; -- Begin function _Z12ssm_scan_f32ILm128ELm16ELm2EEvPKfS1_S1_S1_S1_S1_PKiPfiiiiiiiiiiilll
	.globl	_Z12ssm_scan_f32ILm128ELm16ELm2EEvPKfS1_S1_S1_S1_S1_PKiPfiiiiiiiiiiilll
	.p2align	8
	.type	_Z12ssm_scan_f32ILm128ELm16ELm2EEvPKfS1_S1_S1_S1_S1_PKiPfiiiiiiiiiiilll,@function
_Z12ssm_scan_f32ILm128ELm16ELm2EEvPKfS1_S1_S1_S1_S1_PKiPfiiiiiiiiiiilll: ; @_Z12ssm_scan_f32ILm128ELm16ELm2EEvPKfS1_S1_S1_S1_S1_PKiPfiiiiiiiiiiilll
; %bb.0:
	s_clause 0x1
	s_load_b512 s[4:19], s[0:1], 0x0
	s_load_b256 s[20:27], s[0:1], 0x40
	s_bfe_u32 s3, ttmp6, 0x4000c
	s_bfe_u32 s28, ttmp6, 0x40010
	s_add_co_i32 s3, s3, 1
	s_add_co_i32 s28, s28, 1
	s_and_b32 s2, ttmp6, 15
	s_bfe_u32 s29, ttmp6, 0x40004
	s_mul_i32 s3, ttmp9, s3
	s_mul_i32 s28, ttmp7, s28
	s_getreg_b32 s30, hwreg(HW_REG_IB_STS2, 6, 4)
	s_add_co_i32 s2, s2, s3
	s_add_co_i32 s29, s29, s28
	s_cmp_eq_u32 s30, 0
	s_mov_b32 s35, 0
	s_cselect_b32 s34, ttmp9, s2
	s_cselect_b32 s2, ttmp7, s29
	v_mov_b32_e32 v35, 0
	v_cmp_gt_u32_e32 vcc_lo, 16, v0
	s_wait_kmcnt 0x0
	s_load_b32 s30, s[16:17], s34 offset:0x0 scale_offset
	s_ashr_i32 s3, s26, 2
	s_ashr_i32 s29, s26, 31
	v_mul_lo_u32 v34, s3, v0
	s_mov_b32 s3, s35
	s_mov_b32 s28, s26
	s_wait_xcnt 0x0
	s_lshl_b64 s[16:17], s[2:3], 7
	s_ashr_i32 s26, s20, 2
	s_mul_u64 s[28:29], s[16:17], s[28:29]
	s_delay_alu instid0(SALU_CYCLE_1)
	s_add_nc_u64 s[10:11], s[10:11], s[28:29]
	s_delay_alu instid0(VALU_DEP_1) | instid1(SALU_CYCLE_1)
	v_lshl_add_u64 v[36:37], v[34:35], 2, s[10:11]
	v_mul_lo_u32 v34, s26, v0
	s_ashr_i32 s11, s20, 31
	s_mov_b32 s10, s20
	s_delay_alu instid0(SALU_CYCLE_1) | instskip(SKIP_4) | instid1(SALU_CYCLE_1)
	s_mul_u64 s[10:11], s[16:17], s[10:11]
	s_wait_kmcnt 0x0
	s_mul_i32 s28, s30, s21
	s_mov_b32 s17, s35
	s_ashr_i32 s29, s28, 31
	s_add_nc_u64 s[4:5], s[4:5], s[28:29]
	s_load_b96 s[28:30], s[0:1], 0x60
	s_add_nc_u64 s[4:5], s[4:5], s[10:11]
	s_delay_alu instid0(SALU_CYCLE_1)
	v_lshl_add_u64 v[38:39], v[34:35], 2, s[4:5]
	s_clause 0x3
	global_load_b128 v[2:5], v[36:37], off offset:48
	global_load_b128 v[6:9], v[36:37], off offset:32
	;; [unrolled: 1-line block ×3, first 2 shown]
	global_load_b128 v[14:17], v[36:37], off
	s_clause 0x3
	global_load_b128 v[18:21], v[38:39], off offset:48
	global_load_b128 v[22:25], v[38:39], off offset:32
	;; [unrolled: 1-line block ×3, first 2 shown]
	global_load_b128 v[30:33], v[38:39], off
	s_wait_xcnt 0x0
	v_dual_mov_b32 v39, v35 :: v_dual_lshlrev_b32 v38, 2, v0
	s_mov_b32 s5, s35
	s_delay_alu instid0(VALU_DEP_1)
	v_add_nc_u32_e32 v1, 64, v38
	s_wait_kmcnt 0x0
	s_mul_i32 s4, s28, s34
	s_mul_i32 s16, s30, s34
	s_add_nc_u64 s[4:5], s[12:13], s[4:5]
	s_add_nc_u64 s[12:13], s[14:15], s[16:17]
	v_add_nc_u64_e32 v[42:43], s[4:5], v[38:39]
	v_add_nc_u64_e32 v[40:41], s[12:13], v[38:39]
	s_and_saveexec_b32 s4, vcc_lo
	s_cbranch_execz .LBB3_2
; %bb.1:
	global_load_b32 v36, v[42:43], off
	global_load_b32 v37, v[40:41], off
	s_wait_loadcnt 0x1
	ds_store_b32 v38, v36
	s_wait_loadcnt 0x0
	ds_store_b32 v1, v37
.LBB3_2:
	s_or_b32 exec_lo, exec_lo, s4
	s_mul_i32 s4, s25, s34
	s_mov_b32 s5, s35
	s_lshl_b64 s[12:13], s[2:3], 9
	s_add_nc_u64 s[2:3], s[8:9], s[4:5]
	s_wait_loadcnt_dscnt 0x0
	s_add_nc_u64 s[4:5], s[2:3], s[12:13]
	s_barrier_signal -1
	s_barrier_wait -1
	global_load_b32 v46, v0, s[4:5] scale_offset
	s_mov_b32 s3, exec_lo
	s_wait_loadcnt 0x0
	v_cmpx_ge_f32_e32 0x41a00000, v46
	s_cbranch_execz .LBB3_4
; %bb.3:
	v_mul_f32_e32 v36, 0x3fb8aa3b, v46
	v_cmp_ngt_f32_e64 s2, 0xc2ce8ed0, v46
	s_delay_alu instid0(VALU_DEP_2) | instskip(SKIP_1) | instid1(VALU_DEP_2)
	v_rndne_f32_e32 v37, v36
	v_fma_f32 v44, 0x3fb8aa3b, v46, -v36
	v_sub_f32_e32 v36, v36, v37
	s_delay_alu instid0(VALU_DEP_2) | instskip(SKIP_1) | instid1(VALU_DEP_2)
	v_fmamk_f32 v44, v46, 0x32a5705f, v44
	v_cvt_i32_f32_e32 v37, v37
	v_add_f32_e32 v36, v36, v44
	s_delay_alu instid0(VALU_DEP_1) | instskip(SKIP_1) | instid1(TRANS32_DEP_1)
	v_exp_f32_e32 v36, v36
	v_nop
	v_ldexp_f32 v36, v36, v37
	s_delay_alu instid0(VALU_DEP_1) | instskip(SKIP_1) | instid1(VALU_DEP_1)
	v_cndmask_b32_e64 v36, 0, v36, s2
	v_cmp_nlt_f32_e64 s2, 0x42b17218, v46
	v_cndmask_b32_e64 v58, 0x7f800000, v36, s2
	s_delay_alu instid0(VALU_DEP_1) | instskip(NEXT) | instid1(VALU_DEP_1)
	v_add_f32_e32 v44, 1.0, v58
	v_cvt_f64_f32_e32 v[36:37], v44
	s_delay_alu instid0(VALU_DEP_1) | instskip(SKIP_1) | instid1(VALU_DEP_1)
	v_frexp_exp_i32_f64_e32 v36, v[36:37]
	v_frexp_mant_f32_e32 v37, v44
	v_cmp_gt_f32_e64 s2, 0x3f2aaaab, v37
	s_delay_alu instid0(VALU_DEP_1) | instskip(SKIP_2) | instid1(VALU_DEP_2)
	v_subrev_co_ci_u32_e64 v48, null, 0, v36, s2
	v_add_f32_e32 v36, -1.0, v44
	s_mov_b32 s2, 0x3e9b6dac
	v_sub_nc_u32_e32 v37, 0, v48
	s_delay_alu instid0(VALU_DEP_2) | instskip(NEXT) | instid1(VALU_DEP_2)
	v_sub_f32_e32 v45, v36, v44
	v_ldexp_f32 v44, v44, v37
	s_delay_alu instid0(VALU_DEP_1) | instskip(SKIP_2) | instid1(VALU_DEP_1)
	v_dual_add_f32 v45, 1.0, v45 :: v_dual_add_f32 v46, 1.0, v44
	v_add_f32_e32 v47, -1.0, v44
	v_sub_f32_e32 v36, v58, v36
	v_dual_add_f32 v36, v36, v45 :: v_dual_add_f32 v45, -1.0, v46
	s_delay_alu instid0(VALU_DEP_1) | instskip(NEXT) | instid1(VALU_DEP_2)
	v_ldexp_f32 v36, v36, v37
	v_dual_sub_f32 v37, v44, v45 :: v_dual_add_f32 v45, 1.0, v47
	s_delay_alu instid0(VALU_DEP_1) | instskip(NEXT) | instid1(VALU_DEP_1)
	v_add_f32_e32 v49, v36, v37
	v_add_f32_e32 v50, v46, v49
	s_delay_alu instid0(VALU_DEP_3) | instskip(NEXT) | instid1(VALU_DEP_1)
	v_sub_f32_e32 v37, v44, v45
	v_add_f32_e32 v51, v36, v37
	s_delay_alu instid0(VALU_DEP_1) | instskip(NEXT) | instid1(VALU_DEP_4)
	v_add_f32_e32 v37, v47, v51
	v_rcp_f32_e32 v52, v50
	s_delay_alu instid0(VALU_DEP_1) | instskip(NEXT) | instid1(VALU_DEP_1)
	v_dual_sub_f32 v36, v46, v50 :: v_dual_sub_f32 v54, v47, v37
	v_add_f32_e32 v49, v49, v36
	s_delay_alu instid0(TRANS32_DEP_1) | instskip(NEXT) | instid1(VALU_DEP_1)
	v_mul_f32_e32 v53, v37, v52
	v_mul_f32_e32 v44, v50, v53
	s_delay_alu instid0(VALU_DEP_1) | instskip(NEXT) | instid1(VALU_DEP_1)
	v_fma_f32 v46, v53, v50, -v44
	v_fmac_f32_e32 v46, v53, v49
	s_delay_alu instid0(VALU_DEP_1) | instskip(NEXT) | instid1(VALU_DEP_1)
	v_add_f32_e32 v36, v44, v46
	v_dual_sub_f32 v45, v37, v36 :: v_dual_mov_b32 v47, v36
	s_delay_alu instid0(VALU_DEP_1) | instskip(SKIP_1) | instid1(VALU_DEP_2)
	v_pk_add_f32 v[36:37], v[36:37], v[44:45] neg_lo:[0,1] neg_hi:[0,1]
	v_add_f32_e32 v44, v51, v54
	v_pk_add_f32 v[36:37], v[36:37], v[46:47] neg_lo:[0,1] neg_hi:[0,1]
	s_delay_alu instid0(VALU_DEP_1) | instskip(NEXT) | instid1(VALU_DEP_1)
	v_add_f32_e32 v37, v44, v37
	v_add_f32_e32 v51, v36, v37
	s_delay_alu instid0(VALU_DEP_1) | instskip(NEXT) | instid1(VALU_DEP_1)
	v_add_f32_e32 v37, v45, v51
	v_mul_f32_e32 v54, v52, v37
	s_delay_alu instid0(VALU_DEP_1) | instskip(NEXT) | instid1(VALU_DEP_1)
	v_mul_f32_e32 v46, v50, v54
	v_fma_f32 v44, v54, v50, -v46
	s_delay_alu instid0(VALU_DEP_1) | instskip(NEXT) | instid1(VALU_DEP_1)
	v_fmac_f32_e32 v44, v54, v49
	v_dual_add_f32 v36, v46, v44 :: v_dual_sub_f32 v49, v45, v37
	s_delay_alu instid0(VALU_DEP_1) | instskip(NEXT) | instid1(VALU_DEP_1)
	v_dual_mov_b32 v45, v36 :: v_dual_sub_f32 v47, v37, v36
	v_pk_add_f32 v[36:37], v[36:37], v[46:47] neg_lo:[0,1] neg_hi:[0,1]
	s_delay_alu instid0(VALU_DEP_3) | instskip(NEXT) | instid1(VALU_DEP_2)
	v_add_f32_e32 v46, v51, v49
	v_pk_add_f32 v[36:37], v[36:37], v[44:45] neg_lo:[0,1] neg_hi:[0,1]
	v_cvt_f32_i32_e32 v44, v48
	s_delay_alu instid0(VALU_DEP_2) | instskip(NEXT) | instid1(VALU_DEP_1)
	v_dual_add_f32 v37, v46, v37 :: v_dual_add_f32 v46, v53, v54
	v_add_f32_e32 v36, v36, v37
	s_delay_alu instid0(VALU_DEP_2) | instskip(NEXT) | instid1(VALU_DEP_1)
	v_sub_f32_e32 v37, v46, v53
	v_dual_sub_f32 v37, v54, v37 :: v_dual_add_f32 v36, v47, v36
	s_delay_alu instid0(VALU_DEP_1) | instskip(NEXT) | instid1(VALU_DEP_1)
	v_mul_f32_e32 v36, v52, v36
	v_dual_add_f32 v49, v37, v36 :: v_dual_mov_b32 v36, 0x3f317218
	s_delay_alu instid0(VALU_DEP_1) | instskip(NEXT) | instid1(VALU_DEP_1)
	v_add_f32_e32 v47, v46, v49
	v_mul_f32_e32 v37, v47, v47
	s_delay_alu instid0(VALU_DEP_1) | instskip(SKIP_1) | instid1(VALU_DEP_2)
	v_dual_fmaak_f32 v50, s2, v37, 0x3ecc95a3 :: v_dual_mul_f32 v45, v47, v37
	v_cmp_neq_f32_e64 s2, 0x7f800000, v58
	v_fmaak_f32 v37, v37, v50, 0x3f2aaada
	s_delay_alu instid0(VALU_DEP_1) | instskip(SKIP_1) | instid1(VALU_DEP_2)
	v_pk_mul_f32 v[36:37], v[44:45], v[36:37]
	v_ldexp_f32 v45, v47, 1
	v_fma_f32 v48, 0x3f317218, v44, -v36
	s_delay_alu instid0(VALU_DEP_1) | instskip(SKIP_1) | instid1(VALU_DEP_2)
	v_fmamk_f32 v44, v44, 0xb102e308, v48
	v_sub_f32_e32 v48, v47, v46
	v_pk_add_f32 v[46:47], v[36:37], v[44:45]
	s_delay_alu instid0(VALU_DEP_1) | instskip(NEXT) | instid1(VALU_DEP_1)
	v_dual_sub_f32 v45, v47, v45 :: v_dual_mov_b32 v56, v47
	v_sub_f32_e32 v45, v37, v45
	s_delay_alu instid0(VALU_DEP_4) | instskip(NEXT) | instid1(VALU_DEP_1)
	v_sub_f32_e32 v48, v49, v48
	v_ldexp_f32 v49, v48, 1
	v_mov_b32_e32 v48, v36
	v_pk_add_f32 v[36:37], v[46:47], v[36:37] neg_lo:[0,1] neg_hi:[0,1]
	s_delay_alu instid0(VALU_DEP_3) | instskip(NEXT) | instid1(VALU_DEP_1)
	v_add_f32_e32 v49, v49, v45
	v_pk_add_f32 v[50:51], v[46:47], v[48:49]
	s_delay_alu instid0(VALU_DEP_1) | instskip(NEXT) | instid1(VALU_DEP_1)
	v_dual_mov_b32 v45, v46 :: v_dual_mov_b32 v37, v51
	v_pk_add_f32 v[52:53], v[44:45], v[36:37]
	v_pk_add_f32 v[36:37], v[44:45], v[36:37] neg_lo:[0,1] neg_hi:[0,1]
	s_delay_alu instid0(VALU_DEP_2) | instskip(NEXT) | instid1(VALU_DEP_1)
	v_dual_mov_b32 v48, v53 :: v_dual_mov_b32 v37, v53
	v_pk_add_f32 v[54:55], v[48:49], v[46:47] neg_lo:[0,1] neg_hi:[0,1]
	v_dual_mov_b32 v52, v51 :: v_dual_mov_b32 v47, v46
	s_delay_alu instid0(VALU_DEP_2) | instskip(SKIP_1) | instid1(VALU_DEP_2)
	v_dual_mov_b32 v46, v49 :: v_dual_mov_b32 v57, v54
	v_mov_b32_e32 v49, v54
	v_pk_add_f32 v[54:55], v[52:53], v[56:57] neg_lo:[0,1] neg_hi:[0,1]
	s_delay_alu instid0(VALU_DEP_2) | instskip(SKIP_1) | instid1(VALU_DEP_3)
	v_pk_add_f32 v[44:45], v[50:51], v[48:49] neg_lo:[0,1] neg_hi:[0,1]
	v_mov_b32_e32 v44, v36
	v_pk_add_f32 v[46:47], v[46:47], v[54:55] neg_lo:[0,1] neg_hi:[0,1]
	s_delay_alu instid0(VALU_DEP_1) | instskip(NEXT) | instid1(VALU_DEP_1)
	v_pk_add_f32 v[44:45], v[44:45], v[46:47]
	v_mov_b32_e32 v50, v45
	s_delay_alu instid0(VALU_DEP_1) | instskip(NEXT) | instid1(VALU_DEP_1)
	v_pk_add_f32 v[50:51], v[44:45], v[50:51]
	v_pk_add_f32 v[48:49], v[48:49], v[50:51]
	s_delay_alu instid0(VALU_DEP_1) | instskip(NEXT) | instid1(VALU_DEP_1)
	v_dual_mov_b32 v47, v50 :: v_dual_mov_b32 v45, v48
	v_pk_add_f32 v[52:53], v[44:45], v[36:37] neg_lo:[0,1] neg_hi:[0,1]
	s_delay_alu instid0(VALU_DEP_1) | instskip(NEXT) | instid1(VALU_DEP_2)
	v_sub_f32_e32 v37, v44, v52
	v_pk_add_f32 v[44:45], v[46:47], v[52:53] neg_lo:[0,1] neg_hi:[0,1]
	s_delay_alu instid0(VALU_DEP_2) | instskip(NEXT) | instid1(VALU_DEP_1)
	v_sub_f32_e32 v36, v36, v37
	v_add_f32_e32 v36, v44, v36
	s_delay_alu instid0(VALU_DEP_1) | instskip(NEXT) | instid1(VALU_DEP_1)
	v_add_f32_e32 v36, v36, v45
	v_add_f32_e32 v36, v48, v36
	s_delay_alu instid0(VALU_DEP_1) | instskip(SKIP_1) | instid1(VALU_DEP_1)
	v_cndmask_b32_e64 v36, 0x7f800000, v36, s2
	v_cmp_gt_f32_e64 s2, 0x33800000, v58
	v_cndmask_b32_e64 v46, v36, v58, s2
.LBB3_4:
	s_or_b32 exec_lo, exec_lo, s3
	s_mul_i32 s2, s23, s34
	s_mov_b32 s3, 0
	v_add_nc_u64_e32 v[44:45], s[4:5], v[38:39]
	s_add_nc_u64 s[2:3], s[6:7], s[2:3]
	v_dual_mov_b32 v39, 0 :: v_dual_mul_f32 v47, v46, v14
	s_add_nc_u64 s[8:9], s[2:3], s[12:13]
	v_dual_mul_f32 v56, v46, v15 :: v_dual_mul_f32 v57, v46, v16
	global_load_b32 v36, v0, s[8:9] scale_offset
	ds_load_b128 v[48:51], v39
	ds_load_b128 v[52:55], v39 offset:16
	v_dual_mul_f32 v37, 0x3fb8aa3b, v47 :: v_dual_mul_f32 v58, 0x3fb8aa3b, v56
	v_mul_f32_e32 v59, 0x3fb8aa3b, v57
	v_cmp_ngt_f32_e64 s2, 0xc2ce8ed0, v56
	v_cmp_ngt_f32_e64 s4, 0xc2ce8ed0, v47
	s_delay_alu instid0(VALU_DEP_4)
	v_fma_f32 v61, 0x3fb8aa3b, v47, -v37
	v_rndne_f32_e32 v62, v37
	v_rndne_f32_e32 v64, v58
	v_fma_f32 v63, 0x3fb8aa3b, v56, -v58
	v_mul_f32_e32 v67, v46, v4
	v_fmac_f32_e32 v61, 0x32a5705f, v47
	s_delay_alu instid0(VALU_DEP_4) | instskip(SKIP_4) | instid1(VALU_DEP_1)
	v_dual_sub_f32 v65, v37, v62 :: v_dual_sub_f32 v58, v58, v64
	v_cvt_i32_f32_e32 v62, v62
	s_wait_loadcnt 0x0
	v_dual_mul_f32 v68, v46, v5 :: v_dual_mul_f32 v60, v46, v36
	s_wait_dscnt 0x1
	v_pk_mul_f32 v[36:37], v[60:61], v[48:49] op_sel_hi:[0,1]
	v_pk_mul_f32 v[48:49], v[60:61], v[50:51] op_sel_hi:[0,1]
	v_fma_f32 v50, 0x3fb8aa3b, v57, -v59
	v_rndne_f32_e32 v51, v59
	s_delay_alu instid0(VALU_DEP_2) | instskip(NEXT) | instid1(VALU_DEP_2)
	v_fmac_f32_e32 v50, 0x32a5705f, v57
	v_dual_add_f32 v61, v65, v61 :: v_dual_sub_f32 v59, v59, v51
	v_fmac_f32_e32 v63, 0x32a5705f, v56
	v_mul_f32_e32 v65, v46, v17
	v_cvt_i32_f32_e32 v51, v51
	s_delay_alu instid0(VALU_DEP_4) | instskip(NEXT) | instid1(VALU_DEP_3)
	v_exp_f32_e32 v61, v61
	v_dual_add_f32 v50, v59, v50 :: v_dual_add_f32 v58, v58, v63
	s_delay_alu instid0(VALU_DEP_3) | instskip(NEXT) | instid1(VALU_DEP_2)
	v_mul_f32_e32 v63, 0x3fb8aa3b, v65
	v_exp_f32_e32 v50, v50
	s_delay_alu instid0(VALU_DEP_2) | instskip(NEXT) | instid1(VALU_DEP_1)
	v_exp_f32_e32 v58, v58
	v_fma_f32 v59, 0x3fb8aa3b, v65, -v63
	v_rndne_f32_e32 v66, v63
	v_ldexp_f32 v61, v61, v62
	v_mul_f32_e32 v62, v46, v10
	s_delay_alu instid0(TRANS32_DEP_2) | instskip(NEXT) | instid1(VALU_DEP_4)
	v_ldexp_f32 v50, v50, v51
	v_sub_f32_e32 v63, v63, v66
	v_fmac_f32_e32 v59, 0x32a5705f, v65
	v_cmp_ngt_f32_e64 s3, 0xc2ce8ed0, v65
	s_delay_alu instid0(VALU_DEP_2) | instskip(SKIP_3) | instid1(VALU_DEP_4)
	v_add_f32_e32 v59, v63, v59
	v_cvt_i32_f32_e32 v63, v64
	v_cvt_i32_f32_e32 v64, v66
	v_mul_f32_e32 v66, v46, v13
	v_exp_f32_e32 v59, v59
	s_delay_alu instid0(VALU_DEP_3) | instskip(SKIP_1) | instid1(TRANS32_DEP_1)
	v_ldexp_f32 v58, v58, v63
	v_mul_f32_e32 v63, v46, v11
	v_ldexp_f32 v59, v59, v64
	s_delay_alu instid0(VALU_DEP_3)
	v_cndmask_b32_e64 v51, 0, v58, s2
	v_cmp_nlt_f32_e64 s2, 0x42b17218, v56
	v_dual_mul_f32 v58, v46, v6 :: v_dual_cndmask_b32 v56, 0, v61, s4
	v_cmp_ngt_f32_e64 s4, 0xc2ce8ed0, v57
	v_dual_mul_f32 v64, v46, v12 :: v_dual_cndmask_b32 v59, 0, v59, s3
	v_cmp_nlt_f32_e64 s3, 0x42b17218, v65
	v_cndmask_b32_e64 v51, 0x7f800000, v51, s2
	s_delay_alu instid0(VALU_DEP_4)
	v_cndmask_b32_e64 v65, 0, v50, s4
	v_cmp_nlt_f32_e64 s4, 0x42b17218, v47
	v_cmp_nlt_f32_e64 s2, 0x42b17218, v57
	v_mul_f32_e32 v47, 0x3fb8aa3b, v63
	v_cndmask_b32_e64 v57, 0x7f800000, v59, s3
	v_mul_f32_e32 v59, 0x3fb8aa3b, v64
	v_cndmask_b32_e64 v50, 0x7f800000, v56, s4
	v_cndmask_b32_e64 v56, 0x7f800000, v65, s2
	v_cmp_ngt_f32_e64 s2, 0xc2ce8ed0, v63
	v_cmp_ngt_f32_e64 s3, 0xc2ce8ed0, v62
	s_delay_alu instid0(VALU_DEP_4) | instskip(NEXT) | instid1(VALU_DEP_4)
	v_pk_fma_f32 v[36:37], v[30:31], v[50:51], v[36:37]
	v_pk_fma_f32 v[30:31], v[32:33], v[56:57], v[48:49]
	v_mul_f32_e32 v32, 0x3fb8aa3b, v66
	v_rndne_f32_e32 v49, v47
	v_fma_f32 v56, 0x3fb8aa3b, v64, -v59
	v_rndne_f32_e32 v57, v59
	v_fma_f32 v33, 0x3fb8aa3b, v63, -v47
	s_delay_alu instid0(VALU_DEP_3) | instskip(NEXT) | instid1(VALU_DEP_3)
	v_dual_sub_f32 v47, v47, v49 :: v_dual_fmac_f32 v56, 0x32a5705f, v64
	v_sub_f32_e32 v59, v59, v57
	v_mul_f32_e32 v61, 0x3fb8aa3b, v62
	s_delay_alu instid0(VALU_DEP_4)
	v_fmac_f32_e32 v33, 0x32a5705f, v63
	v_cvt_i32_f32_e32 v49, v49
	v_cvt_i32_f32_e32 v57, v57
	v_add_f32_e32 v56, v59, v56
	v_fma_f32 v50, 0x3fb8aa3b, v62, -v61
	v_rndne_f32_e32 v51, v61
	v_dual_add_f32 v33, v47, v33 :: v_dual_mul_f32 v47, v46, v7
	s_delay_alu instid0(VALU_DEP_4) | instskip(NEXT) | instid1(VALU_DEP_3)
	v_exp_f32_e32 v56, v56
	v_fmac_f32_e32 v50, 0x32a5705f, v62
	s_delay_alu instid0(VALU_DEP_3) | instskip(SKIP_3) | instid1(VALU_DEP_3)
	v_sub_f32_e32 v48, v61, v51
	v_fma_f32 v61, 0x3fb8aa3b, v66, -v32
	v_exp_f32_e32 v33, v33
	v_cvt_i32_f32_e32 v51, v51
	v_dual_mul_f32 v59, v46, v8 :: v_dual_add_f32 v48, v48, v50
	v_rndne_f32_e32 v50, v32
	v_fmac_f32_e32 v61, 0x32a5705f, v66
	v_ldexp_f32 v56, v56, v57
	s_delay_alu instid0(TRANS32_DEP_1) | instskip(SKIP_3) | instid1(VALU_DEP_2)
	v_ldexp_f32 v33, v33, v49
	v_exp_f32_e32 v48, v48
	v_sub_f32_e32 v32, v32, v50
	v_cmp_ngt_f32_e64 s4, 0xc2ce8ed0, v59
	v_add_f32_e32 v32, v32, v61
	v_cvt_i32_f32_e32 v61, v50
	s_delay_alu instid0(TRANS32_DEP_1) | instskip(SKIP_3) | instid1(TRANS32_DEP_1)
	v_ldexp_f32 v65, v48, v51
	ds_load_b128 v[48:51], v39 offset:32
	v_exp_f32_e32 v32, v32
	v_nop
	v_ldexp_f32 v32, v32, v61
	v_cndmask_b32_e64 v57, 0, v65, s3
	v_cmp_ngt_f32_e64 s3, 0xc2ce8ed0, v64
	v_cndmask_b32_e64 v33, 0, v33, s2
	v_cmp_nlt_f32_e64 s2, 0x42b17218, v63
	v_mul_f32_e32 v61, 0x3fb8aa3b, v58
	v_mul_f32_e32 v63, 0x3fb8aa3b, v47
	v_cndmask_b32_e64 v56, 0, v56, s3
	v_cmp_ngt_f32_e64 s3, 0xc2ce8ed0, v66
	v_cndmask_b32_e64 v33, 0x7f800000, v33, s2
	v_cmp_nlt_f32_e64 s2, 0x42b17218, v64
	s_delay_alu instid0(VALU_DEP_3) | instskip(SKIP_1) | instid1(VALU_DEP_3)
	v_cndmask_b32_e64 v65, 0, v32, s3
	v_cmp_nlt_f32_e64 s3, 0x42b17218, v62
	v_cndmask_b32_e64 v56, 0x7f800000, v56, s2
	v_cmp_nlt_f32_e64 s2, 0x42b17218, v66
	v_mul_f32_e32 v62, 0x3fb8aa3b, v59
	v_fma_f32 v64, 0x3fb8aa3b, v58, -v61
	v_cndmask_b32_e64 v32, 0x7f800000, v57, s3
	s_wait_dscnt 0x1
	v_pk_mul_f32 v[52:53], v[60:61], v[52:53] op_sel_hi:[0,1]
	v_cndmask_b32_e64 v57, 0x7f800000, v65, s2
	v_rndne_f32_e32 v65, v61
	v_pk_mul_f32 v[54:55], v[60:61], v[54:55] op_sel_hi:[0,1]
	v_fmac_f32_e32 v64, 0x32a5705f, v58
	v_pk_fma_f32 v[32:33], v[26:27], v[32:33], v[52:53]
	v_cmp_ngt_f32_e64 s2, 0xc2ce8ed0, v47
	v_sub_f32_e32 v61, v61, v65
	v_pk_fma_f32 v[26:27], v[28:29], v[56:57], v[54:55]
	ds_load_b128 v[52:55], v39 offset:48
	v_cmp_ngt_f32_e64 s3, 0xc2ce8ed0, v58
	s_wait_dscnt 0x1
	v_pk_mul_f32 v[28:29], v[60:61], v[48:49] op_sel_hi:[0,1]
	v_pk_mul_f32 v[48:49], v[60:61], v[50:51] op_sel_hi:[0,1]
	v_rndne_f32_e32 v51, v62
	v_dual_add_f32 v61, v61, v64 :: v_dual_mul_f32 v64, v46, v9
	v_fma_f32 v56, 0x3fb8aa3b, v47, -v63
	v_rndne_f32_e32 v57, v63
	v_fma_f32 v50, 0x3fb8aa3b, v59, -v62
	v_sub_f32_e32 v62, v62, v51
	v_exp_f32_e32 v61, v61
	s_delay_alu instid0(VALU_DEP_3) | instskip(NEXT) | instid1(VALU_DEP_3)
	v_dual_fmac_f32 v56, 0x32a5705f, v47 :: v_dual_sub_f32 v63, v63, v57
	v_fmac_f32_e32 v50, 0x32a5705f, v59
	v_cvt_i32_f32_e32 v57, v57
	v_cvt_i32_f32_e32 v51, v51
	s_delay_alu instid0(VALU_DEP_3) | instskip(SKIP_1) | instid1(VALU_DEP_2)
	v_dual_add_f32 v56, v63, v56 :: v_dual_add_f32 v50, v62, v50
	v_mul_f32_e32 v63, 0x3fb8aa3b, v64
	v_exp_f32_e32 v56, v56
	s_delay_alu instid0(VALU_DEP_2) | instskip(NEXT) | instid1(VALU_DEP_1)
	v_exp_f32_e32 v50, v50
	v_fma_f32 v62, 0x3fb8aa3b, v64, -v63
	v_rndne_f32_e32 v66, v63
	s_delay_alu instid0(VALU_DEP_1) | instskip(NEXT) | instid1(TRANS32_DEP_2)
	v_dual_fmac_f32 v62, 0x32a5705f, v64 :: v_dual_sub_f32 v63, v63, v66
	v_ldexp_f32 v56, v56, v57
	s_delay_alu instid0(TRANS32_DEP_1) | instskip(NEXT) | instid1(VALU_DEP_3)
	v_ldexp_f32 v50, v50, v51
	v_add_f32_e32 v62, v63, v62
	v_cvt_i32_f32_e32 v63, v65
	v_cvt_i32_f32_e32 v65, v66
	s_delay_alu instid0(VALU_DEP_4) | instskip(NEXT) | instid1(VALU_DEP_4)
	v_dual_mul_f32 v66, v46, v3 :: v_dual_cndmask_b32 v50, 0, v50, s4
	v_exp_f32_e32 v62, v62
	s_delay_alu instid0(VALU_DEP_3) | instskip(SKIP_3) | instid1(VALU_DEP_4)
	v_ldexp_f32 v61, v61, v63
	v_dual_mul_f32 v63, v46, v2 :: v_dual_cndmask_b32 v51, 0, v56, s2
	v_cmp_nlt_f32_e64 s2, 0x42b17218, v47
	v_mul_f32_e32 v56, 0x3fb8aa3b, v66
	v_cndmask_b32_e64 v47, 0, v61, s3
	s_delay_alu instid0(TRANS32_DEP_1) | instskip(SKIP_3) | instid1(VALU_DEP_3)
	v_ldexp_f32 v46, v62, v65
	v_cmp_ngt_f32_e64 s3, 0xc2ce8ed0, v64
	v_mul_f32_e32 v57, 0x3fb8aa3b, v63
	v_cmp_nlt_f32_e64 s4, 0x42b17218, v58
	v_cndmask_b32_e64 v61, 0, v46, s3
	v_cmp_nlt_f32_e64 s3, 0x42b17218, v64
	s_delay_alu instid0(VALU_DEP_3)
	v_cndmask_b32_e64 v46, 0x7f800000, v47, s4
	v_cndmask_b32_e64 v47, 0x7f800000, v51, s2
	v_cmp_nlt_f32_e64 s2, 0x42b17218, v59
	v_fma_f32 v59, 0x3fb8aa3b, v63, -v57
	v_cndmask_b32_e64 v51, 0x7f800000, v61, s3
	v_rndne_f32_e32 v61, v57
	v_mul_f32_e32 v62, 0x3fb8aa3b, v67
	v_pk_fma_f32 v[28:29], v[22:23], v[46:47], v[28:29]
	v_fma_f32 v46, 0x3fb8aa3b, v66, -v56
	v_fmac_f32_e32 v59, 0x32a5705f, v63
	v_sub_f32_e32 v47, v57, v61
	v_cvt_i32_f32_e32 v61, v61
	s_load_b128 s[4:7], s[0:1], 0x70
	v_fmac_f32_e32 v46, 0x32a5705f, v66
	s_wait_xcnt 0x0
	v_cmp_ngt_f32_e64 s0, 0xc2ce8ed0, v67
	v_add_f32_e32 v57, v47, v59
	v_cndmask_b32_e64 v50, 0x7f800000, v50, s2
	v_cmp_ngt_f32_e64 s2, 0xc2ce8ed0, v63
	s_delay_alu instid0(VALU_DEP_3) | instskip(NEXT) | instid1(VALU_DEP_2)
	v_exp_f32_e32 v57, v57
	v_pk_fma_f32 v[22:23], v[24:25], v[50:51], v[48:49]
	v_rndne_f32_e32 v24, v56
	v_fma_f32 v25, 0x3fb8aa3b, v67, -v62
	v_rndne_f32_e32 v50, v62
	v_mul_f32_e32 v58, 0x3fb8aa3b, v68
	s_delay_alu instid0(VALU_DEP_4) | instskip(SKIP_1) | instid1(VALU_DEP_4)
	v_sub_f32_e32 v48, v56, v24
	v_cvt_i32_f32_e32 v24, v24
	v_sub_f32_e32 v49, v62, v50
	s_delay_alu instid0(VALU_DEP_4)
	v_rndne_f32_e32 v56, v58
	v_fmac_f32_e32 v25, 0x32a5705f, v67
	v_fma_f32 v51, 0x3fb8aa3b, v68, -v58
	v_ldexp_f32 v61, v57, v61
	v_cvt_i32_f32_e32 v50, v50
	v_dual_sub_f32 v58, v58, v56 :: v_dual_add_f32 v59, v48, v46
	v_add_f32_e32 v25, v49, v25
	ds_load_b128 v[46:49], v39 offset:64
	v_fmac_f32_e32 v51, 0x32a5705f, v68
	v_cvt_i32_f32_e32 v62, v56
	v_exp_f32_e32 v25, v25
	s_delay_alu instid0(VALU_DEP_2) | instskip(SKIP_1) | instid1(TRANS32_DEP_2)
	v_add_f32_e32 v51, v58, v51
	v_exp_f32_e32 v58, v59
	v_ldexp_f32 v65, v25, v50
	s_delay_alu instid0(TRANS32_DEP_1) | instskip(SKIP_3) | instid1(VALU_DEP_1)
	v_ldexp_f32 v64, v58, v24
	ds_load_b128 v[56:59], v39 offset:80
	s_wait_dscnt 0x1
	v_fma_f32 v69, v46, v36, 0
	v_fmac_f32_e32 v69, v47, v37
	v_exp_f32_e32 v51, v51
	s_delay_alu instid0(VALU_DEP_1) | instskip(NEXT) | instid1(TRANS32_DEP_1)
	v_fmac_f32_e32 v69, v48, v30
	v_ldexp_f32 v62, v51, v62
	s_delay_alu instid0(VALU_DEP_2)
	v_fmac_f32_e32 v69, v49, v31
	s_wait_dscnt 0x0
	v_pk_mul_f32 v[24:25], v[56:57], v[32:33]
	v_pk_mul_f32 v[50:51], v[58:59], v[26:27]
	ds_load_b128 v[46:49], v39 offset:96
	v_add_f32_e32 v24, v69, v24
	s_delay_alu instid0(VALU_DEP_1) | instskip(SKIP_4) | instid1(VALU_DEP_3)
	v_add_f32_e32 v24, v24, v25
	v_cndmask_b32_e64 v25, 0, v61, s2
	v_cmp_ngt_f32_e64 s2, 0xc2ce8ed0, v66
	v_cndmask_b32_e64 v61, 0, v65, s0
	v_cmp_ngt_f32_e64 s0, 0xc2ce8ed0, v68
	v_dual_add_f32 v50, v24, v50 :: v_dual_cndmask_b32 v56, 0, v64, s2
	v_cmp_nlt_f32_e64 s2, 0x42b17218, v63
	s_delay_alu instid0(VALU_DEP_2) | instskip(NEXT) | instid1(VALU_DEP_2)
	v_add_f32_e32 v50, v50, v51
	v_cndmask_b32_e64 v24, 0x7f800000, v25, s2
	v_cmp_nlt_f32_e64 s2, 0x42b17218, v66
	s_delay_alu instid0(VALU_DEP_1) | instskip(SKIP_4) | instid1(VALU_DEP_2)
	v_cndmask_b32_e64 v25, 0x7f800000, v56, s2
	ds_load_b128 v[56:59], v39 offset:112
	s_wait_dscnt 0x1
	v_pk_mul_f32 v[46:47], v[46:47], v[28:29]
	v_pk_mul_f32 v[48:49], v[48:49], v[22:23]
	v_add_f32_e32 v46, v50, v46
	v_pk_mul_f32 v[50:51], v[60:61], v[52:53] op_sel_hi:[0,1]
	v_cndmask_b32_e64 v52, 0, v62, s0
	v_cmp_nlt_f32_e64 s0, 0x42b17218, v67
	s_delay_alu instid0(VALU_DEP_4) | instskip(NEXT) | instid1(VALU_DEP_4)
	v_add_f32_e32 v47, v46, v47
	v_pk_fma_f32 v[24:25], v[18:19], v[24:25], v[50:51]
	v_pk_mul_f32 v[18:19], v[60:61], v[54:55] op_sel_hi:[0,1]
	s_delay_alu instid0(VALU_DEP_4) | instskip(SKIP_2) | instid1(VALU_DEP_2)
	v_cndmask_b32_e64 v46, 0x7f800000, v61, s0
	v_cmp_nlt_f32_e64 s0, 0x42b17218, v68
	v_add_f32_e32 v48, v47, v48
	v_cndmask_b32_e64 v47, 0x7f800000, v52, s0
	s_wait_dscnt 0x0
	v_pk_mul_f32 v[50:51], v[56:57], v[24:25]
	s_delay_alu instid0(VALU_DEP_3)
	v_add_f32_e32 v48, v48, v49
	s_wait_kmcnt 0x0
	s_mul_u64 s[0:1], s[34:35], s[6:7]
	v_pk_fma_f32 v[18:19], v[20:21], v[46:47], v[18:19]
	s_lshl_b64 s[0:1], s[0:1], 3
	v_add_f32_e32 v46, v48, v50
	s_add_nc_u64 s[0:1], s[18:19], s[0:1]
	s_delay_alu instid0(VALU_DEP_2) | instskip(SKIP_1) | instid1(VALU_DEP_2)
	v_pk_mul_f32 v[20:21], v[58:59], v[18:19]
	s_add_nc_u64 s[0:1], s[0:1], s[12:13]
	v_add_f32_e32 v46, v46, v51
	s_delay_alu instid0(VALU_DEP_1) | instskip(NEXT) | instid1(VALU_DEP_1)
	v_add_f32_e32 v20, v46, v20
	v_add_f32_e32 v20, v20, v21
	global_store_b32 v0, v20, s[0:1] scale_offset
	s_wait_storecnt 0x0
	s_barrier_signal -1
	s_barrier_wait -1
	s_wait_xcnt 0x0
	s_and_saveexec_b32 s2, vcc_lo
	s_cbranch_execz .LBB3_6
; %bb.5:
	s_ashr_i32 s12, s27, 2
	s_ashr_i32 s14, s29, 2
	;; [unrolled: 1-line block ×4, first 2 shown]
	v_lshl_add_u64 v[20:21], s[12:13], 2, v[42:43]
	v_lshl_add_u64 v[40:41], s[14:15], 2, v[40:41]
	global_load_b32 v0, v[20:21], off
	global_load_b32 v42, v[40:41], off
	s_wait_loadcnt 0x1
	ds_store_b32 v38, v0
	s_wait_loadcnt 0x0
	ds_store_b32 v1, v42
.LBB3_6:
	s_or_b32 exec_lo, exec_lo, s2
	s_ashr_i32 s2, s24, 2
	s_wait_dscnt 0x0
	s_ashr_i32 s3, s2, 31
	s_barrier_signal -1
	v_lshl_add_u64 v[0:1], s[2:3], 2, v[44:45]
	s_barrier_wait -1
	v_add_nc_u64_e32 v[20:21], s[8:9], v[38:39]
	global_load_b32 v40, v[0:1], off
	s_wait_xcnt 0x0
	v_add_nc_u64_e32 v[0:1], s[0:1], v[38:39]
	s_mov_b32 s0, exec_lo
	s_wait_loadcnt 0x0
	v_cmpx_ge_f32_e32 0x41a00000, v40
	s_cbranch_execz .LBB3_8
; %bb.7:
	v_mul_f32_e32 v38, 0x3fb8aa3b, v40
	v_cmp_ngt_f32_e32 vcc_lo, 0xc2ce8ed0, v40
	s_mov_b32 s1, 0x3e9b6dac
	s_delay_alu instid0(VALU_DEP_2) | instskip(SKIP_1) | instid1(VALU_DEP_1)
	v_rndne_f32_e32 v39, v38
	v_fma_f32 v41, 0x3fb8aa3b, v40, -v38
	v_dual_sub_f32 v38, v38, v39 :: v_dual_fmamk_f32 v41, v40, 0x32a5705f, v41
	v_cvt_i32_f32_e32 v39, v39
	s_delay_alu instid0(VALU_DEP_2) | instskip(NEXT) | instid1(VALU_DEP_1)
	v_add_f32_e32 v38, v38, v41
	v_exp_f32_e32 v38, v38
	v_nop
	s_delay_alu instid0(TRANS32_DEP_1) | instskip(NEXT) | instid1(VALU_DEP_1)
	v_ldexp_f32 v38, v38, v39
	v_cndmask_b32_e32 v38, 0, v38, vcc_lo
	v_cmp_nlt_f32_e32 vcc_lo, 0x42b17218, v40
	s_delay_alu instid0(VALU_DEP_2) | instskip(NEXT) | instid1(VALU_DEP_1)
	v_cndmask_b32_e32 v54, 0x7f800000, v38, vcc_lo
	v_add_f32_e32 v40, 1.0, v54
	s_delay_alu instid0(VALU_DEP_1) | instskip(NEXT) | instid1(VALU_DEP_1)
	v_cvt_f64_f32_e32 v[38:39], v40
	v_frexp_exp_i32_f64_e32 v38, v[38:39]
	v_frexp_mant_f32_e32 v39, v40
	s_delay_alu instid0(VALU_DEP_1) | instskip(NEXT) | instid1(VALU_DEP_3)
	v_cmp_gt_f32_e32 vcc_lo, 0x3f2aaaab, v39
	v_subrev_co_ci_u32_e64 v44, null, 0, v38, vcc_lo
	v_add_f32_e32 v38, -1.0, v40
	s_delay_alu instid0(VALU_DEP_2) | instskip(NEXT) | instid1(VALU_DEP_2)
	v_sub_nc_u32_e32 v39, 0, v44
	v_sub_f32_e32 v41, v38, v40
	v_cmp_neq_f32_e32 vcc_lo, 0x7f800000, v54
	s_delay_alu instid0(VALU_DEP_3) | instskip(NEXT) | instid1(VALU_DEP_1)
	v_ldexp_f32 v40, v40, v39
	v_dual_add_f32 v41, 1.0, v41 :: v_dual_add_f32 v42, 1.0, v40
	v_dual_sub_f32 v38, v54, v38 :: v_dual_add_f32 v43, -1.0, v40
	s_delay_alu instid0(VALU_DEP_1) | instskip(NEXT) | instid1(VALU_DEP_1)
	v_dual_add_f32 v38, v38, v41 :: v_dual_add_f32 v41, -1.0, v42
	v_ldexp_f32 v38, v38, v39
	s_delay_alu instid0(VALU_DEP_2) | instskip(NEXT) | instid1(VALU_DEP_1)
	v_dual_sub_f32 v39, v40, v41 :: v_dual_add_f32 v41, 1.0, v43
	v_dual_add_f32 v45, v38, v39 :: v_dual_sub_f32 v39, v40, v41
	s_delay_alu instid0(VALU_DEP_1) | instskip(NEXT) | instid1(VALU_DEP_1)
	v_add_f32_e32 v47, v38, v39
	v_dual_add_f32 v46, v42, v45 :: v_dual_add_f32 v39, v43, v47
	s_delay_alu instid0(VALU_DEP_1) | instskip(NEXT) | instid1(VALU_DEP_1)
	v_rcp_f32_e32 v48, v46
	v_sub_f32_e32 v50, v43, v39
	s_delay_alu instid0(TRANS32_DEP_1) | instskip(NEXT) | instid1(VALU_DEP_1)
	v_mul_f32_e32 v49, v39, v48
	v_mul_f32_e32 v40, v46, v49
	s_delay_alu instid0(VALU_DEP_1) | instskip(NEXT) | instid1(VALU_DEP_1)
	v_dual_sub_f32 v38, v42, v46 :: v_dual_fma_f32 v42, v49, v46, -v40
	v_add_f32_e32 v45, v45, v38
	s_delay_alu instid0(VALU_DEP_1) | instskip(NEXT) | instid1(VALU_DEP_1)
	v_fmac_f32_e32 v42, v49, v45
	v_add_f32_e32 v38, v40, v42
	s_delay_alu instid0(VALU_DEP_1) | instskip(NEXT) | instid1(VALU_DEP_1)
	v_dual_sub_f32 v41, v39, v38 :: v_dual_mov_b32 v43, v38
	v_pk_add_f32 v[38:39], v[38:39], v[40:41] neg_lo:[0,1] neg_hi:[0,1]
	v_add_f32_e32 v40, v47, v50
	s_delay_alu instid0(VALU_DEP_2) | instskip(NEXT) | instid1(VALU_DEP_1)
	v_pk_add_f32 v[38:39], v[38:39], v[42:43] neg_lo:[0,1] neg_hi:[0,1]
	v_add_f32_e32 v39, v40, v39
	s_delay_alu instid0(VALU_DEP_1) | instskip(NEXT) | instid1(VALU_DEP_1)
	v_add_f32_e32 v47, v38, v39
	v_add_f32_e32 v39, v41, v47
	s_delay_alu instid0(VALU_DEP_1) | instskip(NEXT) | instid1(VALU_DEP_1)
	v_mul_f32_e32 v50, v48, v39
	v_mul_f32_e32 v42, v46, v50
	s_delay_alu instid0(VALU_DEP_1) | instskip(NEXT) | instid1(VALU_DEP_1)
	v_fma_f32 v40, v50, v46, -v42
	v_dual_fmac_f32 v40, v50, v45 :: v_dual_sub_f32 v45, v41, v39
	s_delay_alu instid0(VALU_DEP_1) | instskip(NEXT) | instid1(VALU_DEP_1)
	v_add_f32_e32 v38, v42, v40
	v_dual_sub_f32 v43, v39, v38 :: v_dual_mov_b32 v41, v38
	s_delay_alu instid0(VALU_DEP_1) | instskip(NEXT) | instid1(VALU_DEP_4)
	v_pk_add_f32 v[38:39], v[38:39], v[42:43] neg_lo:[0,1] neg_hi:[0,1]
	v_add_f32_e32 v42, v47, v45
	s_delay_alu instid0(VALU_DEP_2) | instskip(SKIP_1) | instid1(VALU_DEP_2)
	v_pk_add_f32 v[38:39], v[38:39], v[40:41] neg_lo:[0,1] neg_hi:[0,1]
	v_cvt_f32_i32_e32 v40, v44
	v_dual_add_f32 v39, v42, v39 :: v_dual_add_f32 v42, v49, v50
	s_delay_alu instid0(VALU_DEP_1) | instskip(NEXT) | instid1(VALU_DEP_1)
	v_add_f32_e32 v38, v38, v39
	v_dual_sub_f32 v39, v42, v49 :: v_dual_add_f32 v38, v43, v38
	s_delay_alu instid0(VALU_DEP_1) | instskip(NEXT) | instid1(VALU_DEP_1)
	v_dual_sub_f32 v39, v50, v39 :: v_dual_mul_f32 v38, v48, v38
	v_dual_add_f32 v45, v39, v38 :: v_dual_mov_b32 v38, 0x3f317218
	s_delay_alu instid0(VALU_DEP_1) | instskip(NEXT) | instid1(VALU_DEP_1)
	v_add_f32_e32 v43, v42, v45
	v_mul_f32_e32 v39, v43, v43
	s_delay_alu instid0(VALU_DEP_1) | instskip(NEXT) | instid1(VALU_DEP_1)
	v_dual_fmaak_f32 v46, s1, v39, 0x3ecc95a3 :: v_dual_mul_f32 v41, v43, v39
	v_fmaak_f32 v39, v39, v46, 0x3f2aaada
	s_delay_alu instid0(VALU_DEP_1) | instskip(SKIP_1) | instid1(VALU_DEP_2)
	v_pk_mul_f32 v[38:39], v[40:41], v[38:39]
	v_ldexp_f32 v41, v43, 1
	v_fma_f32 v44, 0x3f317218, v40, -v38
	s_delay_alu instid0(VALU_DEP_1) | instskip(SKIP_1) | instid1(VALU_DEP_2)
	v_fmamk_f32 v40, v40, 0xb102e308, v44
	v_sub_f32_e32 v44, v43, v42
	v_pk_add_f32 v[42:43], v[38:39], v[40:41]
	s_delay_alu instid0(VALU_DEP_1) | instskip(NEXT) | instid1(VALU_DEP_1)
	v_dual_sub_f32 v41, v43, v41 :: v_dual_sub_f32 v44, v45, v44
	v_sub_f32_e32 v41, v39, v41
	s_delay_alu instid0(VALU_DEP_2) | instskip(SKIP_2) | instid1(VALU_DEP_3)
	v_ldexp_f32 v45, v44, 1
	v_mov_b32_e32 v44, v38
	v_pk_add_f32 v[38:39], v[42:43], v[38:39] neg_lo:[0,1] neg_hi:[0,1]
	v_dual_add_f32 v45, v45, v41 :: v_dual_mov_b32 v41, v42
	s_delay_alu instid0(VALU_DEP_1) | instskip(NEXT) | instid1(VALU_DEP_1)
	v_pk_add_f32 v[46:47], v[42:43], v[44:45]
	v_dual_mov_b32 v52, v43 :: v_dual_mov_b32 v39, v47
	s_delay_alu instid0(VALU_DEP_1) | instskip(NEXT) | instid1(VALU_DEP_1)
	v_pk_add_f32 v[48:49], v[40:41], v[38:39]
	v_dual_mov_b32 v48, v47 :: v_dual_mov_b32 v44, v49
	v_pk_add_f32 v[38:39], v[40:41], v[38:39] neg_lo:[0,1] neg_hi:[0,1]
	s_delay_alu instid0(VALU_DEP_2) | instskip(SKIP_1) | instid1(VALU_DEP_2)
	v_pk_add_f32 v[50:51], v[44:45], v[42:43] neg_lo:[0,1] neg_hi:[0,1]
	v_dual_mov_b32 v43, v42 :: v_dual_mov_b32 v42, v45
	v_dual_mov_b32 v45, v50 :: v_dual_mov_b32 v53, v50
	s_delay_alu instid0(VALU_DEP_1) | instskip(NEXT) | instid1(VALU_DEP_2)
	v_pk_add_f32 v[40:41], v[46:47], v[44:45] neg_lo:[0,1] neg_hi:[0,1]
	v_pk_add_f32 v[50:51], v[48:49], v[52:53] neg_lo:[0,1] neg_hi:[0,1]
	v_mov_b32_e32 v40, v38
	s_delay_alu instid0(VALU_DEP_2) | instskip(NEXT) | instid1(VALU_DEP_1)
	v_pk_add_f32 v[42:43], v[42:43], v[50:51] neg_lo:[0,1] neg_hi:[0,1]
	v_pk_add_f32 v[40:41], v[40:41], v[42:43]
	s_delay_alu instid0(VALU_DEP_1) | instskip(NEXT) | instid1(VALU_DEP_1)
	v_mov_b32_e32 v46, v41
	v_pk_add_f32 v[46:47], v[40:41], v[46:47]
	s_delay_alu instid0(VALU_DEP_1) | instskip(NEXT) | instid1(VALU_DEP_1)
	v_pk_add_f32 v[44:45], v[44:45], v[46:47]
	v_dual_mov_b32 v39, v49 :: v_dual_mov_b32 v41, v44
	s_delay_alu instid0(VALU_DEP_1) | instskip(NEXT) | instid1(VALU_DEP_1)
	v_pk_add_f32 v[48:49], v[40:41], v[38:39] neg_lo:[0,1] neg_hi:[0,1]
	v_dual_mov_b32 v43, v46 :: v_dual_sub_f32 v39, v40, v48
	s_delay_alu instid0(VALU_DEP_1) | instskip(NEXT) | instid1(VALU_DEP_2)
	v_pk_add_f32 v[40:41], v[42:43], v[48:49] neg_lo:[0,1] neg_hi:[0,1]
	v_sub_f32_e32 v38, v38, v39
	s_delay_alu instid0(VALU_DEP_1) | instskip(NEXT) | instid1(VALU_DEP_1)
	v_add_f32_e32 v38, v40, v38
	v_add_f32_e32 v38, v38, v41
	s_delay_alu instid0(VALU_DEP_1) | instskip(NEXT) | instid1(VALU_DEP_1)
	v_add_f32_e32 v38, v44, v38
	v_cndmask_b32_e32 v38, 0x7f800000, v38, vcc_lo
	v_cmp_gt_f32_e32 vcc_lo, 0x33800000, v54
	s_delay_alu instid0(VALU_DEP_2)
	v_cndmask_b32_e32 v40, v38, v54, vcc_lo
.LBB3_8:
	s_or_b32 exec_lo, exec_lo, s0
	s_ashr_i32 s0, s22, 2
	s_delay_alu instid0(VALU_DEP_1)
	v_dual_mul_f32 v39, v40, v15 :: v_dual_mul_f32 v41, v40, v16
	s_ashr_i32 s1, s0, 31
	v_dual_mul_f32 v42, v40, v17 :: v_dual_mul_f32 v52, v40, v10
	v_lshl_add_u64 v[20:21], s[0:1], 2, v[20:21]
	v_dual_mul_f32 v53, v40, v11 :: v_dual_mul_f32 v54, v40, v12
	v_dual_mov_b32 v48, 0 :: v_dual_mul_f32 v55, v40, v13
	v_mul_f32_e32 v56, v40, v6
	global_load_b32 v20, v[20:21], off
	s_wait_xcnt 0x0
	v_dual_mul_f32 v21, v40, v14 :: v_dual_mul_f32 v59, v40, v9
	v_dual_mul_f32 v60, v40, v2 :: v_dual_mul_f32 v61, v40, v3
	v_dual_mul_f32 v62, v40, v4 :: v_dual_mul_f32 v63, v40, v5
	v_mul_f32_e32 v6, 0x3fb8aa3b, v52
	s_delay_alu instid0(VALU_DEP_4)
	v_dual_mul_f32 v2, 0x3fb8aa3b, v21 :: v_dual_mul_f32 v3, 0x3fb8aa3b, v39
	v_dual_mul_f32 v4, 0x3fb8aa3b, v41 :: v_dual_mul_f32 v5, 0x3fb8aa3b, v42
	;; [unrolled: 1-line block ×5, first 2 shown]
	v_fma_f32 v44, 0x3fb8aa3b, v39, -v3
	v_fma_f32 v46, 0x3fb8aa3b, v41, -v4
	v_rndne_f32_e32 v47, v4
	v_fma_f32 v49, 0x3fb8aa3b, v42, -v5
	v_rndne_f32_e32 v50, v5
	;; [unrolled: 2-line block ×3, first 2 shown]
	v_dual_mul_f32 v11, 0x3fb8aa3b, v57 :: v_dual_mul_f32 v12, 0x3fb8aa3b, v58
	v_fma_f32 v38, 0x3fb8aa3b, v21, -v2
	v_rndne_f32_e32 v43, v2
	v_rndne_f32_e32 v45, v3
	v_fma_f32 v65, 0x3fb8aa3b, v53, -v7
	v_rndne_f32_e32 v66, v7
	v_rndne_f32_e32 v68, v8
	v_fma_f32 v69, 0x3fb8aa3b, v55, -v9
	v_rndne_f32_e32 v70, v9
	v_dual_fmac_f32 v44, 0x32a5705f, v39 :: v_dual_fmac_f32 v49, 0x32a5705f, v42
	v_dual_fmac_f32 v46, 0x32a5705f, v41 :: v_dual_sub_f32 v5, v5, v50
	v_dual_sub_f32 v4, v4, v47 :: v_dual_fmac_f32 v51, 0x32a5705f, v52
	v_dual_sub_f32 v6, v6, v64 :: v_dual_mul_f32 v13, 0x3fb8aa3b, v59
	v_mul_f32_e32 v14, 0x3fb8aa3b, v60
	v_fma_f32 v67, 0x3fb8aa3b, v54, -v8
	v_dual_sub_f32 v2, v2, v43 :: v_dual_sub_f32 v3, v3, v45
	v_fmac_f32_e32 v38, 0x32a5705f, v21
	v_fma_f32 v75, 0x3fb8aa3b, v58, -v12
	v_dual_add_f32 v4, v4, v46 :: v_dual_add_f32 v49, v5, v49
	v_add_f32_e32 v51, v6, v51
	v_rndne_f32_e32 v76, v12
	v_dual_fmac_f32 v65, 0x32a5705f, v53 :: v_dual_sub_f32 v6, v7, v66
	v_dual_sub_f32 v7, v8, v68 :: v_dual_sub_f32 v8, v9, v70
	v_fmac_f32_e32 v69, 0x32a5705f, v55
	v_dual_mul_f32 v15, 0x3fb8aa3b, v61 :: v_dual_mul_f32 v16, 0x3fb8aa3b, v62
	v_fma_f32 v71, 0x3fb8aa3b, v56, -v10
	v_rndne_f32_e32 v72, v10
	v_fma_f32 v73, 0x3fb8aa3b, v57, -v11
	v_rndne_f32_e32 v74, v11
	v_add_f32_e32 v3, v3, v44
	v_dual_mul_f32 v17, 0x3fb8aa3b, v63 :: v_dual_add_f32 v2, v2, v38
	v_fma_f32 v38, 0x3fb8aa3b, v59, -v13
	v_fmac_f32_e32 v67, 0x32a5705f, v54
	v_add_f32_e32 v69, v8, v69
	v_dual_fmac_f32 v75, 0x32a5705f, v58 :: v_dual_sub_f32 v8, v12, v76
	v_fma_f32 v44, 0x3fb8aa3b, v60, -v14
	v_fma_f32 v46, 0x3fb8aa3b, v61, -v15
	v_add_f32_e32 v65, v6, v65
	v_rndne_f32_e32 v77, v13
	v_rndne_f32_e32 v78, v14
	;; [unrolled: 1-line block ×3, first 2 shown]
	v_dual_sub_f32 v6, v10, v72 :: v_dual_add_f32 v67, v7, v67
	v_dual_sub_f32 v7, v11, v74 :: v_dual_fmac_f32 v38, 0x32a5705f, v59
	v_dual_fmac_f32 v71, 0x32a5705f, v56 :: v_dual_add_f32 v12, v8, v75
	v_fmac_f32_e32 v73, 0x32a5705f, v57
	v_exp_f32_e32 v2, v2
	v_fma_f32 v5, 0x3fb8aa3b, v62, -v16
	s_delay_alu instid0(VALU_DEP_3)
	v_add_f32_e32 v10, v6, v71
	v_rndne_f32_e32 v71, v16
	v_dual_add_f32 v11, v7, v73 :: v_dual_fmac_f32 v44, 0x32a5705f, v60
	v_rndne_f32_e32 v73, v17
	v_cvt_i32_f32_e32 v7, v43
	v_dual_fmac_f32 v46, 0x32a5705f, v61 :: v_dual_fmac_f32 v5, 0x32a5705f, v62
	v_dual_sub_f32 v13, v13, v77 :: v_dual_sub_f32 v14, v14, v78
	v_sub_f32_e32 v15, v15, v79
	v_exp_f32_e32 v3, v3
	v_exp_f32_e32 v4, v4
	;; [unrolled: 1-line block ×3, first 2 shown]
	v_fma_f32 v6, 0x3fb8aa3b, v63, -v17
	v_cvt_i32_f32_e32 v8, v45
	v_cvt_i32_f32_e32 v9, v47
	v_dual_sub_f32 v16, v16, v71 :: v_dual_add_f32 v13, v13, v38
	v_dual_sub_f32 v17, v17, v73 :: v_dual_add_f32 v14, v14, v44
	v_add_f32_e32 v38, v15, v46
	v_ldexp_f32 v43, v2, v7
	v_cvt_i32_f32_e32 v15, v50
	v_cvt_i32_f32_e32 v50, v68
	v_cmp_ngt_f32_e32 vcc_lo, 0xc2ce8ed0, v21
	v_ldexp_f32 v44, v3, v8
	v_ldexp_f32 v45, v4, v9
	v_exp_f32_e32 v49, v49
	v_ldexp_f32 v67, v67, v50
	v_exp_f32_e32 v50, v38
	v_nop
	v_cndmask_b32_e32 v38, 0, v43, vcc_lo
	v_cmp_ngt_f32_e32 vcc_lo, 0xc2ce8ed0, v39
	v_fmac_f32_e32 v6, 0x32a5705f, v63
	v_exp_f32_e32 v51, v51
	v_ldexp_f32 v49, v49, v15
	v_exp_f32_e32 v65, v65
	v_cndmask_b32_e32 v43, 0, v44, vcc_lo
	v_cmp_ngt_f32_e32 vcc_lo, 0xc2ce8ed0, v41
	v_dual_add_f32 v46, v16, v5 :: v_dual_add_f32 v47, v17, v6
	ds_load_b128 v[2:5], v48
	ds_load_b128 v[6:9], v48 offset:16
	v_exp_f32_e32 v69, v69
	v_cndmask_b32_e32 v44, 0, v45, vcc_lo
	v_cmp_ngt_f32_e32 vcc_lo, 0xc2ce8ed0, v42
	v_exp_f32_e32 v10, v10
	v_exp_f32_e32 v11, v11
	;; [unrolled: 1-line block ×3, first 2 shown]
	v_cvt_i32_f32_e32 v16, v64
	v_cvt_i32_f32_e32 v17, v66
	v_cvt_i32_f32_e32 v64, v70
	v_cvt_i32_f32_e32 v66, v72
	v_cvt_i32_f32_e32 v68, v74
	v_cvt_i32_f32_e32 v70, v76
	v_cndmask_b32_e32 v45, 0, v49, vcc_lo
	v_cmp_nlt_f32_e32 vcc_lo, 0x42b17218, v21
	v_cvt_i32_f32_e32 v72, v77
	v_exp_f32_e32 v75, v13
	v_exp_f32_e32 v76, v14
	v_ldexp_f32 v77, v51, v16
	v_ldexp_f32 v65, v65, v17
	;; [unrolled: 1-line block ×6, first 2 shown]
	ds_load_b128 v[10:13], v48 offset:64
	ds_load_b128 v[14:17], v48 offset:80
	v_cndmask_b32_e32 v38, 0x7f800000, v38, vcc_lo
	v_cmp_nlt_f32_e32 vcc_lo, 0x42b17218, v39
	v_cvt_i32_f32_e32 v74, v78
	v_ldexp_f32 v70, v75, v72
	v_cvt_i32_f32_e32 v71, v71
	v_exp_f32_e32 v75, v47
	v_cndmask_b32_e32 v39, 0x7f800000, v43, vcc_lo
	v_cmp_nlt_f32_e32 vcc_lo, 0x42b17218, v41
	v_ldexp_f32 v72, v76, v74
	v_exp_f32_e32 v74, v46
	v_cvt_i32_f32_e32 v73, v73
	s_mov_b32 s0, 0
	v_cndmask_b32_e32 v44, 0x7f800000, v44, vcc_lo
	v_cmp_nlt_f32_e32 vcc_lo, 0x42b17218, v42
	s_mov_b32 s1, s6
	s_add_nc_u64 s[2:3], s[18:19], s[4:5]
	s_mul_i32 s4, s21, s34
	s_mov_b32 s5, s0
	s_ashr_i64 s[6:7], s[0:1], 30
	s_add_nc_u64 s[0:1], s[2:3], s[4:5]
	v_add_nc_u64_e32 v[0:1], s[6:7], v[0:1]
	s_add_nc_u64 s[0:1], s[0:1], s[10:11]
	s_wait_loadcnt 0x0
	v_dual_mul_f32 v20, v40, v20 :: v_dual_cndmask_b32 v45, 0x7f800000, v45
	v_cmp_ngt_f32_e32 vcc_lo, 0xc2ce8ed0, v52
	s_wait_dscnt 0x3
	s_delay_alu instid0(VALU_DEP_2) | instskip(SKIP_2) | instid1(VALU_DEP_3)
	v_pk_mul_f32 v[2:3], v[20:21], v[2:3] op_sel_hi:[0,1]
	v_pk_mul_f32 v[4:5], v[20:21], v[4:5] op_sel_hi:[0,1]
	v_cvt_i32_f32_e32 v21, v79
	v_pk_fma_f32 v[2:3], v[36:37], v[38:39], v[2:3]
	s_delay_alu instid0(VALU_DEP_3) | instskip(SKIP_1) | instid1(VALU_DEP_4)
	v_pk_fma_f32 v[4:5], v[30:31], v[44:45], v[4:5]
	v_ldexp_f32 v30, v74, v71
	v_ldexp_f32 v21, v50, v21
	ds_load_b128 v[36:39], v48 offset:96
	ds_load_b128 v[40:43], v48 offset:112
	s_wait_dscnt 0x3
	v_fma_f32 v71, v10, v2, 0
	ds_load_b128 v[44:47], v48 offset:32
	ds_load_b128 v[48:51], v48 offset:48
	v_ldexp_f32 v31, v75, v73
	v_pk_mul_f32 v[6:7], v[20:21], v[6:7] op_sel_hi:[0,1]
	v_pk_mul_f32 v[8:9], v[20:21], v[8:9] op_sel_hi:[0,1]
	v_dual_fmac_f32 v71, v11, v3 :: v_dual_cndmask_b32 v10, 0, v77
	v_cmp_ngt_f32_e32 vcc_lo, 0xc2ce8ed0, v53
	s_delay_alu instid0(VALU_DEP_2) | instskip(SKIP_1) | instid1(VALU_DEP_2)
	v_dual_fmac_f32 v71, v12, v4 :: v_dual_cndmask_b32 v65, 0, v65, vcc_lo
	v_cmp_nlt_f32_e32 vcc_lo, 0x42b17218, v52
	v_dual_fmac_f32 v71, v13, v5 :: v_dual_cndmask_b32 v10, 0x7f800000, v10
	v_cmp_nlt_f32_e32 vcc_lo, 0x42b17218, v53
	s_delay_alu instid0(VALU_DEP_4) | instskip(SKIP_1) | instid1(VALU_DEP_2)
	v_cndmask_b32_e32 v11, 0x7f800000, v65, vcc_lo
	v_cmp_ngt_f32_e32 vcc_lo, 0xc2ce8ed0, v54
	v_pk_fma_f32 v[6:7], v[32:33], v[10:11], v[6:7]
	v_cndmask_b32_e32 v12, 0, v67, vcc_lo
	v_cmp_ngt_f32_e32 vcc_lo, 0xc2ce8ed0, v55
	s_wait_dscnt 0x4
	s_delay_alu instid0(VALU_DEP_3) | instskip(SKIP_1) | instid1(VALU_DEP_2)
	v_dual_fmac_f32 v71, v14, v6 :: v_dual_cndmask_b32 v52, 0, v64
	v_cmp_nlt_f32_e32 vcc_lo, 0x42b17218, v54
	v_dual_fmac_f32 v71, v15, v7 :: v_dual_cndmask_b32 v10, 0x7f800000, v12
	v_cmp_nlt_f32_e32 vcc_lo, 0x42b17218, v55
	s_delay_alu instid0(VALU_DEP_4) | instskip(SKIP_1) | instid1(VALU_DEP_2)
	v_cndmask_b32_e32 v11, 0x7f800000, v52, vcc_lo
	v_cmp_ngt_f32_e32 vcc_lo, 0xc2ce8ed0, v56
	v_pk_fma_f32 v[8:9], v[26:27], v[10:11], v[8:9]
	v_cndmask_b32_e32 v12, 0, v66, vcc_lo
	v_cmp_ngt_f32_e32 vcc_lo, 0xc2ce8ed0, v57
	v_cndmask_b32_e32 v13, 0, v68, vcc_lo
	v_cmp_nlt_f32_e32 vcc_lo, 0x42b17218, v56
	s_delay_alu instid0(VALU_DEP_4) | instskip(SKIP_1) | instid1(VALU_DEP_4)
	v_cndmask_b32_e32 v10, 0x7f800000, v12, vcc_lo
	v_cmp_nlt_f32_e32 vcc_lo, 0x42b17218, v57
	v_cndmask_b32_e32 v11, 0x7f800000, v13, vcc_lo
	v_cmp_ngt_f32_e32 vcc_lo, 0xc2ce8ed0, v58
	v_fmac_f32_e32 v71, v16, v8
	s_wait_dscnt 0x1
	v_pk_mul_f32 v[12:13], v[20:21], v[44:45] op_sel_hi:[0,1]
	v_cndmask_b32_e32 v14, 0, v69, vcc_lo
	v_cmp_ngt_f32_e32 vcc_lo, 0xc2ce8ed0, v59
	s_delay_alu instid0(VALU_DEP_3) | instskip(SKIP_4) | instid1(VALU_DEP_4)
	v_pk_fma_f32 v[10:11], v[28:29], v[10:11], v[12:13]
	v_dual_fmac_f32 v71, v17, v9 :: v_dual_cndmask_b32 v15, 0, v70, vcc_lo
	v_cmp_nlt_f32_e32 vcc_lo, 0x42b17218, v58
	v_cndmask_b32_e32 v12, 0x7f800000, v14, vcc_lo
	v_cmp_nlt_f32_e32 vcc_lo, 0x42b17218, v59
	v_cndmask_b32_e32 v13, 0x7f800000, v15, vcc_lo
	v_cmp_ngt_f32_e32 vcc_lo, 0xc2ce8ed0, v60
	v_pk_mul_f32 v[14:15], v[20:21], v[46:47] op_sel_hi:[0,1]
	v_cndmask_b32_e32 v16, 0, v72, vcc_lo
	v_cmp_ngt_f32_e32 vcc_lo, 0xc2ce8ed0, v61
	v_fmac_f32_e32 v71, v36, v10
	s_delay_alu instid0(VALU_DEP_4) | instskip(SKIP_2) | instid1(VALU_DEP_4)
	v_pk_fma_f32 v[12:13], v[22:23], v[12:13], v[14:15]
	v_cndmask_b32_e32 v17, 0, v21, vcc_lo
	v_cmp_nlt_f32_e32 vcc_lo, 0x42b17218, v60
	v_dual_fmac_f32 v71, v37, v11 :: v_dual_cndmask_b32 v14, 0x7f800000, v16
	v_cmp_nlt_f32_e32 vcc_lo, 0x42b17218, v61
	s_delay_alu instid0(VALU_DEP_4)
	v_cndmask_b32_e32 v15, 0x7f800000, v17, vcc_lo
	v_cmp_ngt_f32_e32 vcc_lo, 0xc2ce8ed0, v62
	s_wait_dscnt 0x0
	v_pk_mul_f32 v[16:17], v[20:21], v[48:49] op_sel_hi:[0,1]
	v_dual_fmac_f32 v71, v38, v12 :: v_dual_cndmask_b32 v21, 0, v30, vcc_lo
	v_cmp_ngt_f32_e32 vcc_lo, 0xc2ce8ed0, v63
	s_delay_alu instid0(VALU_DEP_3) | instskip(NEXT) | instid1(VALU_DEP_3)
	v_pk_fma_f32 v[14:15], v[24:25], v[14:15], v[16:17]
	v_dual_fmac_f32 v71, v39, v13 :: v_dual_cndmask_b32 v22, 0, v31
	v_cmp_nlt_f32_e32 vcc_lo, 0x42b17218, v62
	s_delay_alu instid0(VALU_DEP_2) | instskip(SKIP_2) | instid1(VALU_DEP_3)
	v_dual_fmac_f32 v71, v40, v14 :: v_dual_cndmask_b32 v16, 0x7f800000, v21
	v_cmp_nlt_f32_e32 vcc_lo, 0x42b17218, v63
	v_pk_mul_f32 v[20:21], v[20:21], v[50:51] op_sel_hi:[0,1]
	v_fmac_f32_e32 v71, v41, v15
	v_cndmask_b32_e32 v17, 0x7f800000, v22, vcc_lo
	s_delay_alu instid0(VALU_DEP_1) | instskip(SKIP_1) | instid1(VALU_DEP_2)
	v_pk_fma_f32 v[16:17], v[18:19], v[16:17], v[20:21]
	v_lshl_add_u64 v[18:19], v[34:35], 2, s[0:1]
	v_fmac_f32_e32 v71, v42, v16
	s_delay_alu instid0(VALU_DEP_1)
	v_fmac_f32_e32 v71, v43, v17
	global_store_b32 v[0:1], v71, off
	s_wait_storecnt 0x0
	s_barrier_signal -1
	s_barrier_wait -1
	s_clause 0x3
	global_store_b128 v[18:19], v[2:5], off
	global_store_b128 v[18:19], v[6:9], off offset:16
	global_store_b128 v[18:19], v[10:13], off offset:32
	;; [unrolled: 1-line block ×3, first 2 shown]
	s_sendmsg sendmsg(MSG_DEALLOC_VGPRS)
	s_endpgm
	.section	.rodata,"a",@progbits
	.p2align	6, 0x0
	.amdhsa_kernel _Z12ssm_scan_f32ILm128ELm16ELm2EEvPKfS1_S1_S1_S1_S1_PKiPfiiiiiiiiiiilll
		.amdhsa_group_segment_fixed_size 128
		.amdhsa_private_segment_fixed_size 0
		.amdhsa_kernarg_size 136
		.amdhsa_user_sgpr_count 2
		.amdhsa_user_sgpr_dispatch_ptr 0
		.amdhsa_user_sgpr_queue_ptr 0
		.amdhsa_user_sgpr_kernarg_segment_ptr 1
		.amdhsa_user_sgpr_dispatch_id 0
		.amdhsa_user_sgpr_kernarg_preload_length 0
		.amdhsa_user_sgpr_kernarg_preload_offset 0
		.amdhsa_user_sgpr_private_segment_size 0
		.amdhsa_wavefront_size32 1
		.amdhsa_uses_dynamic_stack 0
		.amdhsa_enable_private_segment 0
		.amdhsa_system_sgpr_workgroup_id_x 1
		.amdhsa_system_sgpr_workgroup_id_y 1
		.amdhsa_system_sgpr_workgroup_id_z 0
		.amdhsa_system_sgpr_workgroup_info 0
		.amdhsa_system_vgpr_workitem_id 0
		.amdhsa_next_free_vgpr 80
		.amdhsa_next_free_sgpr 36
		.amdhsa_named_barrier_count 0
		.amdhsa_reserve_vcc 1
		.amdhsa_float_round_mode_32 0
		.amdhsa_float_round_mode_16_64 0
		.amdhsa_float_denorm_mode_32 3
		.amdhsa_float_denorm_mode_16_64 3
		.amdhsa_fp16_overflow 0
		.amdhsa_memory_ordered 1
		.amdhsa_forward_progress 1
		.amdhsa_inst_pref_size 53
		.amdhsa_round_robin_scheduling 0
		.amdhsa_exception_fp_ieee_invalid_op 0
		.amdhsa_exception_fp_denorm_src 0
		.amdhsa_exception_fp_ieee_div_zero 0
		.amdhsa_exception_fp_ieee_overflow 0
		.amdhsa_exception_fp_ieee_underflow 0
		.amdhsa_exception_fp_ieee_inexact 0
		.amdhsa_exception_int_div_zero 0
	.end_amdhsa_kernel
	.section	.text._Z12ssm_scan_f32ILm128ELm16ELm2EEvPKfS1_S1_S1_S1_S1_PKiPfiiiiiiiiiiilll,"axG",@progbits,_Z12ssm_scan_f32ILm128ELm16ELm2EEvPKfS1_S1_S1_S1_S1_PKiPfiiiiiiiiiiilll,comdat
.Lfunc_end3:
	.size	_Z12ssm_scan_f32ILm128ELm16ELm2EEvPKfS1_S1_S1_S1_S1_PKiPfiiiiiiiiiiilll, .Lfunc_end3-_Z12ssm_scan_f32ILm128ELm16ELm2EEvPKfS1_S1_S1_S1_S1_PKiPfiiiiiiiiiiilll
                                        ; -- End function
	.set _Z12ssm_scan_f32ILm128ELm16ELm2EEvPKfS1_S1_S1_S1_S1_PKiPfiiiiiiiiiiilll.num_vgpr, 80
	.set _Z12ssm_scan_f32ILm128ELm16ELm2EEvPKfS1_S1_S1_S1_S1_PKiPfiiiiiiiiiiilll.num_agpr, 0
	.set _Z12ssm_scan_f32ILm128ELm16ELm2EEvPKfS1_S1_S1_S1_S1_PKiPfiiiiiiiiiiilll.numbered_sgpr, 36
	.set _Z12ssm_scan_f32ILm128ELm16ELm2EEvPKfS1_S1_S1_S1_S1_PKiPfiiiiiiiiiiilll.num_named_barrier, 0
	.set _Z12ssm_scan_f32ILm128ELm16ELm2EEvPKfS1_S1_S1_S1_S1_PKiPfiiiiiiiiiiilll.private_seg_size, 0
	.set _Z12ssm_scan_f32ILm128ELm16ELm2EEvPKfS1_S1_S1_S1_S1_PKiPfiiiiiiiiiiilll.uses_vcc, 1
	.set _Z12ssm_scan_f32ILm128ELm16ELm2EEvPKfS1_S1_S1_S1_S1_PKiPfiiiiiiiiiiilll.uses_flat_scratch, 0
	.set _Z12ssm_scan_f32ILm128ELm16ELm2EEvPKfS1_S1_S1_S1_S1_PKiPfiiiiiiiiiiilll.has_dyn_sized_stack, 0
	.set _Z12ssm_scan_f32ILm128ELm16ELm2EEvPKfS1_S1_S1_S1_S1_PKiPfiiiiiiiiiiilll.has_recursion, 0
	.set _Z12ssm_scan_f32ILm128ELm16ELm2EEvPKfS1_S1_S1_S1_S1_PKiPfiiiiiiiiiiilll.has_indirect_call, 0
	.section	.AMDGPU.csdata,"",@progbits
; Kernel info:
; codeLenInByte = 6764
; TotalNumSgprs: 38
; NumVgprs: 80
; ScratchSize: 0
; MemoryBound: 0
; FloatMode: 240
; IeeeMode: 1
; LDSByteSize: 128 bytes/workgroup (compile time only)
; SGPRBlocks: 0
; VGPRBlocks: 4
; NumSGPRsForWavesPerEU: 38
; NumVGPRsForWavesPerEU: 80
; NamedBarCnt: 0
; Occupancy: 12
; WaveLimiterHint : 1
; COMPUTE_PGM_RSRC2:SCRATCH_EN: 0
; COMPUTE_PGM_RSRC2:USER_SGPR: 2
; COMPUTE_PGM_RSRC2:TRAP_HANDLER: 0
; COMPUTE_PGM_RSRC2:TGID_X_EN: 1
; COMPUTE_PGM_RSRC2:TGID_Y_EN: 1
; COMPUTE_PGM_RSRC2:TGID_Z_EN: 0
; COMPUTE_PGM_RSRC2:TIDIG_COMP_CNT: 0
	.section	.text._Z12ssm_scan_f32ILm128ELm16ELm3EEvPKfS1_S1_S1_S1_S1_PKiPfiiiiiiiiiiilll,"axG",@progbits,_Z12ssm_scan_f32ILm128ELm16ELm3EEvPKfS1_S1_S1_S1_S1_PKiPfiiiiiiiiiiilll,comdat
	.protected	_Z12ssm_scan_f32ILm128ELm16ELm3EEvPKfS1_S1_S1_S1_S1_PKiPfiiiiiiiiiiilll ; -- Begin function _Z12ssm_scan_f32ILm128ELm16ELm3EEvPKfS1_S1_S1_S1_S1_PKiPfiiiiiiiiiiilll
	.globl	_Z12ssm_scan_f32ILm128ELm16ELm3EEvPKfS1_S1_S1_S1_S1_PKiPfiiiiiiiiiiilll
	.p2align	8
	.type	_Z12ssm_scan_f32ILm128ELm16ELm3EEvPKfS1_S1_S1_S1_S1_PKiPfiiiiiiiiiiilll,@function
_Z12ssm_scan_f32ILm128ELm16ELm3EEvPKfS1_S1_S1_S1_S1_PKiPfiiiiiiiiiiilll: ; @_Z12ssm_scan_f32ILm128ELm16ELm3EEvPKfS1_S1_S1_S1_S1_PKiPfiiiiiiiiiiilll
; %bb.0:
	s_clause 0x1
	s_load_b512 s[4:19], s[0:1], 0x0
	s_load_b256 s[20:27], s[0:1], 0x40
	s_bfe_u32 s3, ttmp6, 0x4000c
	s_bfe_u32 s28, ttmp6, 0x40010
	s_add_co_i32 s3, s3, 1
	s_add_co_i32 s28, s28, 1
	s_and_b32 s2, ttmp6, 15
	s_bfe_u32 s29, ttmp6, 0x40004
	s_mul_i32 s3, ttmp9, s3
	s_mul_i32 s28, ttmp7, s28
	s_getreg_b32 s30, hwreg(HW_REG_IB_STS2, 6, 4)
	s_add_co_i32 s2, s2, s3
	s_add_co_i32 s29, s29, s28
	s_cmp_eq_u32 s30, 0
	s_mov_b32 s35, 0
	s_cselect_b32 s34, ttmp9, s2
	s_cselect_b32 s2, ttmp7, s29
	v_mov_b32_e32 v35, 0
	v_cmp_gt_u32_e32 vcc_lo, 16, v0
	s_wait_kmcnt 0x0
	s_load_b32 s30, s[16:17], s34 offset:0x0 scale_offset
	s_ashr_i32 s3, s26, 2
	s_ashr_i32 s29, s26, 31
	v_mul_lo_u32 v34, s3, v0
	s_mov_b32 s3, s35
	s_mov_b32 s28, s26
	s_wait_xcnt 0x0
	s_lshl_b64 s[16:17], s[2:3], 7
	s_ashr_i32 s26, s20, 2
	s_mul_u64 s[28:29], s[16:17], s[28:29]
	s_delay_alu instid0(SALU_CYCLE_1)
	s_add_nc_u64 s[10:11], s[10:11], s[28:29]
	s_delay_alu instid0(VALU_DEP_1) | instid1(SALU_CYCLE_1)
	v_lshl_add_u64 v[36:37], v[34:35], 2, s[10:11]
	v_mul_lo_u32 v34, s26, v0
	s_ashr_i32 s11, s20, 31
	s_mov_b32 s10, s20
	s_delay_alu instid0(SALU_CYCLE_1) | instskip(SKIP_4) | instid1(SALU_CYCLE_1)
	s_mul_u64 s[10:11], s[16:17], s[10:11]
	s_wait_kmcnt 0x0
	s_mul_i32 s28, s30, s21
	s_mov_b32 s17, s35
	s_ashr_i32 s29, s28, 31
	s_add_nc_u64 s[4:5], s[4:5], s[28:29]
	s_load_b96 s[28:30], s[0:1], 0x60
	s_add_nc_u64 s[4:5], s[4:5], s[10:11]
	s_delay_alu instid0(SALU_CYCLE_1)
	v_lshl_add_u64 v[38:39], v[34:35], 2, s[4:5]
	s_clause 0x3
	global_load_b128 v[2:5], v[36:37], off offset:48
	global_load_b128 v[6:9], v[36:37], off offset:32
	;; [unrolled: 1-line block ×3, first 2 shown]
	global_load_b128 v[14:17], v[36:37], off
	s_clause 0x3
	global_load_b128 v[18:21], v[38:39], off offset:48
	global_load_b128 v[22:25], v[38:39], off offset:32
	;; [unrolled: 1-line block ×3, first 2 shown]
	global_load_b128 v[30:33], v[38:39], off
	s_wait_xcnt 0x4
	v_dual_mov_b32 v37, v35 :: v_dual_lshlrev_b32 v36, 2, v0
	s_mov_b32 s5, s35
	s_delay_alu instid0(VALU_DEP_1)
	v_add_nc_u32_e32 v48, 64, v36
	s_wait_kmcnt 0x0
	s_mul_i32 s4, s28, s34
	s_mul_i32 s16, s30, s34
	s_add_nc_u64 s[4:5], s[12:13], s[4:5]
	s_add_nc_u64 s[12:13], s[14:15], s[16:17]
	v_add_nc_u64_e32 v[40:41], s[4:5], v[36:37]
	s_wait_xcnt 0x0
	v_add_nc_u64_e32 v[38:39], s[12:13], v[36:37]
	s_and_saveexec_b32 s4, vcc_lo
	s_cbranch_execz .LBB4_2
; %bb.1:
	global_load_b32 v1, v[40:41], off
	global_load_b32 v42, v[38:39], off
	s_wait_loadcnt 0x1
	ds_store_b32 v36, v1
	s_wait_loadcnt 0x0
	ds_store_b32 v48, v42
.LBB4_2:
	s_or_b32 exec_lo, exec_lo, s4
	s_mul_i32 s4, s25, s34
	s_mov_b32 s5, s35
	s_lshl_b64 s[12:13], s[2:3], 9
	s_add_nc_u64 s[2:3], s[8:9], s[4:5]
	s_wait_loadcnt_dscnt 0x0
	s_add_nc_u64 s[4:5], s[2:3], s[12:13]
	s_barrier_signal -1
	s_barrier_wait -1
	global_load_b32 v1, v0, s[4:5] scale_offset
	s_mov_b32 s3, exec_lo
	s_wait_loadcnt 0x0
	v_cmpx_ge_f32_e32 0x41a00000, v1
	s_cbranch_execz .LBB4_4
; %bb.3:
	v_mul_f32_e32 v42, 0x3fb8aa3b, v1
	v_cmp_ngt_f32_e64 s2, 0xc2ce8ed0, v1
	s_delay_alu instid0(VALU_DEP_2) | instskip(SKIP_1) | instid1(VALU_DEP_2)
	v_rndne_f32_e32 v43, v42
	v_fma_f32 v44, 0x3fb8aa3b, v1, -v42
	v_sub_f32_e32 v42, v42, v43
	s_delay_alu instid0(VALU_DEP_2) | instskip(SKIP_1) | instid1(VALU_DEP_2)
	v_fmamk_f32 v44, v1, 0x32a5705f, v44
	v_cvt_i32_f32_e32 v43, v43
	v_add_f32_e32 v42, v42, v44
	s_delay_alu instid0(VALU_DEP_1) | instskip(SKIP_1) | instid1(TRANS32_DEP_1)
	v_exp_f32_e32 v42, v42
	v_nop
	v_ldexp_f32 v42, v42, v43
	s_delay_alu instid0(VALU_DEP_1) | instskip(SKIP_1) | instid1(VALU_DEP_1)
	v_cndmask_b32_e64 v42, 0, v42, s2
	v_cmp_nlt_f32_e64 s2, 0x42b17218, v1
	v_cndmask_b32_e64 v49, 0x7f800000, v42, s2
	s_delay_alu instid0(VALU_DEP_1) | instskip(NEXT) | instid1(VALU_DEP_1)
	v_add_f32_e32 v1, 1.0, v49
	v_cvt_f64_f32_e32 v[42:43], v1
	s_delay_alu instid0(VALU_DEP_1) | instskip(SKIP_1) | instid1(VALU_DEP_1)
	v_frexp_exp_i32_f64_e32 v42, v[42:43]
	v_frexp_mant_f32_e32 v43, v1
	v_cmp_gt_f32_e64 s2, 0x3f2aaaab, v43
	s_delay_alu instid0(VALU_DEP_1) | instskip(SKIP_2) | instid1(VALU_DEP_1)
	v_subrev_co_ci_u32_e64 v50, null, 0, v42, s2
	v_add_f32_e32 v42, -1.0, v1
	s_mov_b32 s2, 0x3e9b6dac
	v_dual_sub_f32 v44, v42, v1 :: v_dual_sub_nc_u32 v43, 0, v50
	s_delay_alu instid0(VALU_DEP_1) | instskip(NEXT) | instid1(VALU_DEP_1)
	v_ldexp_f32 v1, v1, v43
	v_dual_add_f32 v45, 1.0, v1 :: v_dual_add_f32 v47, -1.0, v1
	s_delay_alu instid0(VALU_DEP_3) | instskip(NEXT) | instid1(VALU_DEP_1)
	v_dual_sub_f32 v42, v49, v42 :: v_dual_add_f32 v44, 1.0, v44
	v_dual_add_f32 v42, v42, v44 :: v_dual_add_f32 v44, -1.0, v45
	s_delay_alu instid0(VALU_DEP_1) | instskip(NEXT) | instid1(VALU_DEP_2)
	v_ldexp_f32 v42, v42, v43
	v_sub_f32_e32 v43, v1, v44
	s_delay_alu instid0(VALU_DEP_1) | instskip(NEXT) | instid1(VALU_DEP_1)
	v_add_f32_e32 v46, v42, v43
	v_dual_add_f32 v44, 1.0, v47 :: v_dual_add_f32 v51, v45, v46
	s_delay_alu instid0(VALU_DEP_1) | instskip(NEXT) | instid1(VALU_DEP_2)
	v_sub_f32_e32 v1, v1, v44
	v_rcp_f32_e32 v52, v51
	s_delay_alu instid0(VALU_DEP_1) | instskip(NEXT) | instid1(VALU_DEP_1)
	v_dual_add_f32 v1, v42, v1 :: v_dual_sub_f32 v42, v45, v51
	v_dual_add_f32 v43, v47, v1 :: v_dual_add_f32 v54, v46, v42
	s_delay_alu instid0(TRANS32_DEP_1) | instid1(VALU_DEP_1)
	v_mul_f32_e32 v53, v43, v52
	v_sub_f32_e32 v55, v47, v43
	s_delay_alu instid0(VALU_DEP_1) | instskip(NEXT) | instid1(VALU_DEP_1)
	v_dual_mul_f32 v44, v51, v53 :: v_dual_add_f32 v1, v1, v55
	v_fma_f32 v46, v53, v51, -v44
	s_delay_alu instid0(VALU_DEP_1) | instskip(NEXT) | instid1(VALU_DEP_1)
	v_fmac_f32_e32 v46, v53, v54
	v_add_f32_e32 v42, v44, v46
	s_delay_alu instid0(VALU_DEP_1) | instskip(NEXT) | instid1(VALU_DEP_1)
	v_dual_sub_f32 v45, v43, v42 :: v_dual_mov_b32 v47, v42
	v_pk_add_f32 v[42:43], v[42:43], v[44:45] neg_lo:[0,1] neg_hi:[0,1]
	s_delay_alu instid0(VALU_DEP_1) | instskip(NEXT) | instid1(VALU_DEP_1)
	v_pk_add_f32 v[42:43], v[42:43], v[46:47] neg_lo:[0,1] neg_hi:[0,1]
	v_add_f32_e32 v1, v1, v43
	s_delay_alu instid0(VALU_DEP_1) | instskip(NEXT) | instid1(VALU_DEP_1)
	v_add_f32_e32 v1, v42, v1
	v_add_f32_e32 v43, v45, v1
	s_delay_alu instid0(VALU_DEP_1) | instskip(NEXT) | instid1(VALU_DEP_1)
	v_mul_f32_e32 v55, v52, v43
	v_mul_f32_e32 v46, v51, v55
	s_delay_alu instid0(VALU_DEP_1) | instskip(NEXT) | instid1(VALU_DEP_1)
	v_fma_f32 v44, v55, v51, -v46
	v_dual_sub_f32 v51, v45, v43 :: v_dual_fmac_f32 v44, v55, v54
	s_delay_alu instid0(VALU_DEP_1) | instskip(NEXT) | instid1(VALU_DEP_1)
	v_dual_add_f32 v1, v1, v51 :: v_dual_add_f32 v42, v46, v44
	v_dual_sub_f32 v47, v43, v42 :: v_dual_mov_b32 v45, v42
	s_delay_alu instid0(VALU_DEP_1) | instskip(NEXT) | instid1(VALU_DEP_1)
	v_pk_add_f32 v[42:43], v[42:43], v[46:47] neg_lo:[0,1] neg_hi:[0,1]
	v_pk_add_f32 v[42:43], v[42:43], v[44:45] neg_lo:[0,1] neg_hi:[0,1]
	v_cvt_f32_i32_e32 v44, v50
	s_delay_alu instid0(VALU_DEP_2) | instskip(NEXT) | instid1(VALU_DEP_1)
	v_add_f32_e32 v1, v1, v43
	v_dual_add_f32 v46, v53, v55 :: v_dual_add_f32 v1, v42, v1
	s_delay_alu instid0(VALU_DEP_1) | instskip(NEXT) | instid1(VALU_DEP_2)
	v_sub_f32_e32 v42, v46, v53
	v_add_f32_e32 v1, v47, v1
	s_delay_alu instid0(VALU_DEP_1) | instskip(NEXT) | instid1(VALU_DEP_1)
	v_dual_sub_f32 v42, v55, v42 :: v_dual_mul_f32 v1, v52, v1
	v_dual_add_f32 v1, v42, v1 :: v_dual_mov_b32 v42, 0x3f317218
	s_delay_alu instid0(VALU_DEP_1) | instskip(NEXT) | instid1(VALU_DEP_1)
	v_add_f32_e32 v47, v46, v1
	v_mul_f32_e32 v43, v47, v47
	s_delay_alu instid0(VALU_DEP_1) | instskip(SKIP_2) | instid1(VALU_DEP_3)
	v_fmaak_f32 v51, s2, v43, 0x3ecc95a3
	v_mul_f32_e32 v45, v47, v43
	v_cmp_neq_f32_e64 s2, 0x7f800000, v49
	v_fmaak_f32 v43, v43, v51, 0x3f2aaada
	s_delay_alu instid0(VALU_DEP_1) | instskip(NEXT) | instid1(VALU_DEP_1)
	v_pk_mul_f32 v[42:43], v[44:45], v[42:43]
	v_fma_f32 v50, 0x3f317218, v44, -v42
	s_delay_alu instid0(VALU_DEP_1) | instskip(SKIP_2) | instid1(VALU_DEP_2)
	v_fmamk_f32 v44, v44, 0xb102e308, v50
	v_ldexp_f32 v45, v47, 1
	v_sub_f32_e32 v50, v47, v46
	v_pk_add_f32 v[46:47], v[42:43], v[44:45]
	s_delay_alu instid0(VALU_DEP_2) | instskip(NEXT) | instid1(VALU_DEP_2)
	v_dual_sub_f32 v1, v1, v50 :: v_dual_mov_b32 v50, v42
	v_sub_f32_e32 v45, v47, v45
	s_delay_alu instid0(VALU_DEP_2) | instskip(SKIP_1) | instid1(VALU_DEP_3)
	v_ldexp_f32 v1, v1, 1
	v_mov_b32_e32 v58, v47
	v_sub_f32_e32 v45, v43, v45
	v_pk_add_f32 v[42:43], v[46:47], v[42:43] neg_lo:[0,1] neg_hi:[0,1]
	s_delay_alu instid0(VALU_DEP_2) | instskip(NEXT) | instid1(VALU_DEP_1)
	v_dual_add_f32 v51, v1, v45 :: v_dual_mov_b32 v45, v46
	v_pk_add_f32 v[52:53], v[46:47], v[50:51]
	s_delay_alu instid0(VALU_DEP_1) | instskip(NEXT) | instid1(VALU_DEP_1)
	v_mov_b32_e32 v43, v53
	v_pk_add_f32 v[54:55], v[44:45], v[42:43]
	v_pk_add_f32 v[42:43], v[44:45], v[42:43] neg_lo:[0,1] neg_hi:[0,1]
	s_delay_alu instid0(VALU_DEP_2) | instskip(NEXT) | instid1(VALU_DEP_1)
	v_dual_mov_b32 v50, v55 :: v_dual_mov_b32 v43, v55
	v_pk_add_f32 v[56:57], v[50:51], v[46:47] neg_lo:[0,1] neg_hi:[0,1]
	v_dual_mov_b32 v54, v53 :: v_dual_mov_b32 v47, v46
	s_delay_alu instid0(VALU_DEP_2) | instskip(SKIP_1) | instid1(VALU_DEP_2)
	v_dual_mov_b32 v46, v51 :: v_dual_mov_b32 v59, v56
	v_mov_b32_e32 v1, v56
	v_pk_add_f32 v[56:57], v[54:55], v[58:59] neg_lo:[0,1] neg_hi:[0,1]
	s_delay_alu instid0(VALU_DEP_2) | instskip(SKIP_1) | instid1(VALU_DEP_3)
	v_pk_add_f32 v[44:45], v[52:53], v[0:1] neg_lo:[0,1] neg_hi:[0,1]
	v_mov_b32_e32 v44, v42
	v_pk_add_f32 v[46:47], v[46:47], v[56:57] neg_lo:[0,1] neg_hi:[0,1]
	s_delay_alu instid0(VALU_DEP_1) | instskip(NEXT) | instid1(VALU_DEP_1)
	v_pk_add_f32 v[44:45], v[44:45], v[46:47]
	v_mov_b32_e32 v52, v45
	s_delay_alu instid0(VALU_DEP_1) | instskip(NEXT) | instid1(VALU_DEP_1)
	v_pk_add_f32 v[52:53], v[44:45], v[52:53]
	v_pk_add_f32 v[50:51], v[50:51], v[52:53]
	s_delay_alu instid0(VALU_DEP_1) | instskip(NEXT) | instid1(VALU_DEP_1)
	v_dual_mov_b32 v47, v52 :: v_dual_mov_b32 v45, v50
	v_pk_add_f32 v[54:55], v[44:45], v[42:43] neg_lo:[0,1] neg_hi:[0,1]
	s_delay_alu instid0(VALU_DEP_1) | instskip(NEXT) | instid1(VALU_DEP_2)
	v_sub_f32_e32 v1, v44, v54
	v_pk_add_f32 v[44:45], v[46:47], v[54:55] neg_lo:[0,1] neg_hi:[0,1]
	s_delay_alu instid0(VALU_DEP_2) | instskip(NEXT) | instid1(VALU_DEP_1)
	v_sub_f32_e32 v1, v42, v1
	v_add_f32_e32 v1, v44, v1
	s_delay_alu instid0(VALU_DEP_1) | instskip(NEXT) | instid1(VALU_DEP_1)
	v_add_f32_e32 v1, v1, v45
	v_add_f32_e32 v1, v50, v1
	s_delay_alu instid0(VALU_DEP_1) | instskip(SKIP_1) | instid1(VALU_DEP_1)
	v_cndmask_b32_e64 v1, 0x7f800000, v1, s2
	v_cmp_gt_f32_e64 s2, 0x33800000, v49
	v_cndmask_b32_e64 v1, v1, v49, s2
.LBB4_4:
	s_or_b32 exec_lo, exec_lo, s3
	s_mul_i32 s2, s23, s34
	s_mov_b32 s3, 0
	s_delay_alu instid0(VALU_DEP_1)
	v_dual_mul_f32 v43, v1, v15 :: v_dual_mul_f32 v47, v1, v16
	s_add_nc_u64 s[2:3], s[6:7], s[2:3]
	v_dual_mul_f32 v49, v1, v17 :: v_dual_mul_f32 v78, v1, v10
	s_add_nc_u64 s[14:15], s[2:3], s[12:13]
	v_dual_mul_f32 v79, v1, v11 :: v_dual_mul_f32 v80, v1, v12
	global_load_b32 v46, v0, s[14:15] scale_offset
	v_dual_mul_f32 v83, v1, v7 :: v_dual_mul_f32 v84, v1, v8
	v_dual_mul_f32 v87, v1, v3 :: v_dual_mul_f32 v88, v1, v4
	;; [unrolled: 1-line block ×4, first 2 shown]
	v_add_nc_u64_e32 v[44:45], s[4:5], v[36:37]
	v_dual_mov_b32 v37, 0 :: v_dual_mul_f32 v42, v1, v14
	v_dual_mul_f32 v81, v1, v13 :: v_dual_mul_f32 v82, v1, v6
	v_dual_mul_f32 v55, 0x3fb8aa3b, v79 :: v_dual_mul_f32 v56, 0x3fb8aa3b, v80
	;; [unrolled: 1-line block ×4, first 2 shown]
	v_fma_f32 v70, 0x3fb8aa3b, v47, -v52
	v_fma_f32 v74, 0x3fb8aa3b, v78, -v54
	v_rndne_f32_e32 v75, v54
	v_dual_mul_f32 v85, v1, v9 :: v_dual_mul_f32 v86, v1, v2
	v_dual_mul_f32 v89, v1, v5 :: v_dual_mul_f32 v50, 0x3fb8aa3b, v42
	;; [unrolled: 1-line block ×3, first 2 shown]
	v_fma_f32 v68, 0x3fb8aa3b, v43, -v51
	v_rndne_f32_e32 v71, v52
	v_fma_f32 v72, 0x3fb8aa3b, v49, -v53
	v_rndne_f32_e32 v73, v53
	v_rndne_f32_e32 v77, v55
	;; [unrolled: 1-line block ×4, first 2 shown]
	v_fmac_f32_e32 v70, 0x32a5705f, v47
	v_sub_f32_e32 v54, v54, v75
	v_rndne_f32_e32 v100, v63
	v_fmac_f32_e32 v74, 0x32a5705f, v78
	v_dual_mul_f32 v61, 0x3fb8aa3b, v85 :: v_dual_mul_f32 v62, 0x3fb8aa3b, v86
	v_fma_f32 v66, 0x3fb8aa3b, v42, -v50
	v_rndne_f32_e32 v67, v50
	v_rndne_f32_e32 v69, v51
	v_fma_f32 v76, 0x3fb8aa3b, v79, -v55
	v_fma_f32 v90, 0x3fb8aa3b, v80, -v56
	;; [unrolled: 1-line block ×3, first 2 shown]
	v_rndne_f32_e32 v93, v57
	v_dual_fmac_f32 v68, 0x32a5705f, v43 :: v_dual_sub_f32 v53, v53, v73
	v_fmac_f32_e32 v72, 0x32a5705f, v49
	v_dual_add_f32 v74, v54, v74 :: v_dual_sub_f32 v54, v55, v77
	v_sub_f32_e32 v55, v56, v91
	s_delay_alu instid0(VALU_DEP_3)
	v_dual_sub_f32 v52, v52, v71 :: v_dual_add_f32 v72, v53, v72
	v_dual_mul_f32 v65, 0x3fb8aa3b, v89 :: v_dual_sub_f32 v50, v50, v67
	v_fma_f32 v94, 0x3fb8aa3b, v82, -v58
	v_rndne_f32_e32 v95, v58
	v_dual_fmac_f32 v66, 0x32a5705f, v42 :: v_dual_sub_f32 v51, v51, v69
	v_fma_f32 v53, 0x3fb8aa3b, v86, -v62
	v_fmac_f32_e32 v92, 0x32a5705f, v81
	v_sub_f32_e32 v56, v57, v93
	v_dual_sub_f32 v57, v59, v97 :: v_dual_add_f32 v52, v52, v70
	v_rndne_f32_e32 v70, v61
	v_fmac_f32_e32 v90, 0x32a5705f, v80
	v_dual_add_f32 v50, v50, v66 :: v_dual_add_f32 v51, v51, v68
	v_rndne_f32_e32 v66, v60
	v_fma_f32 v68, 0x3fb8aa3b, v85, -v61
	v_sub_f32_e32 v61, v61, v70
	v_fmac_f32_e32 v53, 0x32a5705f, v86
	v_dual_add_f32 v90, v55, v90 :: v_dual_add_f32 v92, v56, v92
	v_fma_f32 v55, 0x3fb8aa3b, v88, -v64
	v_fmac_f32_e32 v94, 0x32a5705f, v82
	v_dual_sub_f32 v56, v58, v95 :: v_dual_sub_f32 v58, v60, v66
	v_fma_f32 v96, 0x3fb8aa3b, v83, -v59
	v_fma_f32 v98, 0x3fb8aa3b, v84, -v60
	v_rndne_f32_e32 v99, v62
	v_dual_fmac_f32 v55, 0x32a5705f, v88 :: v_dual_fmac_f32 v76, 0x32a5705f, v79
	v_add_f32_e32 v59, v56, v94
	v_rndne_f32_e32 v94, v64
	s_delay_alu instid0(VALU_DEP_4)
	v_sub_f32_e32 v62, v62, v99
	v_fma_f32 v56, 0x3fb8aa3b, v89, -v65
	v_add_f32_e32 v76, v54, v76
	v_fma_f32 v54, 0x3fb8aa3b, v87, -v63
	v_sub_f32_e32 v64, v64, v94
	v_fmac_f32_e32 v96, 0x32a5705f, v83
	v_fmac_f32_e32 v98, 0x32a5705f, v84
	s_delay_alu instid0(VALU_DEP_4) | instskip(NEXT) | instid1(VALU_DEP_3)
	v_dual_sub_f32 v63, v63, v100 :: v_dual_fmac_f32 v54, 0x32a5705f, v87
	v_dual_add_f32 v101, v64, v55 :: v_dual_add_f32 v60, v57, v96
	s_delay_alu instid0(VALU_DEP_3)
	v_add_f32_e32 v58, v58, v98
	v_rndne_f32_e32 v96, v65
	v_fmac_f32_e32 v68, 0x32a5705f, v85
	v_exp_f32_e32 v51, v51
	v_cvt_i32_f32_e32 v57, v67
	v_exp_f32_e32 v58, v58
	v_sub_f32_e32 v65, v65, v96
	v_dual_add_f32 v68, v61, v68 :: v_dual_add_f32 v98, v63, v54
	v_cvt_i32_f32_e32 v67, v69
	v_cvt_i32_f32_e32 v66, v66
	v_exp_f32_e32 v50, v50
	v_exp_f32_e32 v59, v59
	;; [unrolled: 1-line block ×3, first 2 shown]
	s_load_b128 s[4:7], s[0:1], 0x70
	v_fmac_f32_e32 v56, 0x32a5705f, v89
	v_ldexp_f32 v67, v51, v67
	v_cvt_i32_f32_e32 v61, v73
	v_cvt_i32_f32_e32 v73, v95
	v_ldexp_f32 v104, v58, v66
	v_cvt_i32_f32_e32 v66, v70
	s_wait_xcnt 0x0
	v_cmp_ngt_f32_e64 s0, 0xc2ce8ed0, v43
	v_exp_f32_e32 v72, v72
	v_add_f32_e32 v102, v65, v56
	v_ldexp_f32 v103, v50, v57
	v_ldexp_f32 v95, v59, v73
	v_exp_f32_e32 v73, v98
	v_nop
	v_ldexp_f32 v98, v68, v66
	v_cndmask_b32_e64 v66, 0, v67, s0
	v_cmp_ngt_f32_e64 s0, 0xc2ce8ed0, v42
	v_exp_f32_e32 v52, v52
	v_cvt_i32_f32_e32 v69, v71
	v_ldexp_f32 v72, v72, v61
	s_delay_alu instid0(VALU_DEP_3) | instskip(SKIP_2) | instid1(TRANS32_DEP_2)
	v_dual_add_f32 v71, v62, v53 :: v_dual_cndmask_b32 v67, 0, v103, s0
	v_cmp_ngt_f32_e64 s0, 0xc2ce8ed0, v49
	v_exp_f32_e32 v74, v74
	v_ldexp_f32 v69, v52, v69
	ds_load_b128 v[50:53], v37
	ds_load_b128 v[54:57], v37 offset:16
	v_cvt_i32_f32_e32 v62, v75
	v_cndmask_b32_e64 v68, 0, v72, s0
	v_cmp_ngt_f32_e64 s0, 0xc2ce8ed0, v47
	v_exp_f32_e32 v76, v76
	v_exp_f32_e32 v60, v60
	;; [unrolled: 1-line block ×3, first 2 shown]
	v_cvt_i32_f32_e32 v63, v77
	v_cndmask_b32_e64 v69, 0, v69, s0
	v_cmp_nlt_f32_e64 s0, 0x42b17218, v42
	v_cvt_i32_f32_e32 v75, v97
	v_cvt_i32_f32_e32 v70, v99
	;; [unrolled: 1-line block ×3, first 2 shown]
	v_ldexp_f32 v91, v74, v62
	v_cndmask_b32_e64 v42, 0x7f800000, v67, s0
	v_cmp_nlt_f32_e64 s0, 0x42b17218, v43
	v_exp_f32_e32 v74, v101
	v_exp_f32_e32 v77, v90
	;; [unrolled: 1-line block ×3, first 2 shown]
	v_nop
	v_ldexp_f32 v92, v76, v63
	v_cndmask_b32_e64 v43, 0x7f800000, v66, s0
	v_cmp_nlt_f32_e64 s0, 0x42b17218, v47
	v_ldexp_f32 v97, v60, v75
	v_cvt_i32_f32_e32 v75, v100
	v_cvt_i32_f32_e32 v76, v94
	v_ldexp_f32 v99, v71, v70
	v_cvt_i32_f32_e32 v65, v93
	v_ldexp_f32 v93, v77, v64
	v_ldexp_f32 v100, v73, v75
	v_ldexp_f32 v101, v74, v76
	v_exp_f32_e32 v94, v102
	v_ldexp_f32 v90, v90, v65
	ds_load_b128 v[58:61], v37 offset:32
	ds_load_b128 v[62:65], v37 offset:48
	s_ashr_i32 s8, s27, 2
	s_ashr_i32 s2, s29, 2
	;; [unrolled: 1-line block ×4, first 2 shown]
	s_wait_loadcnt 0x0
	v_mul_f32_e32 v46, v1, v46
	v_cndmask_b32_e64 v70, 0x7f800000, v69, s0
	v_cmp_nlt_f32_e64 s0, 0x42b17218, v49
	v_cvt_i32_f32_e32 v1, v96
	s_wait_dscnt 0x3
	v_pk_mul_f32 v[72:73], v[46:47], v[50:51] op_sel_hi:[0,1]
	v_pk_mul_f32 v[74:75], v[46:47], v[52:53] op_sel_hi:[0,1]
	v_cndmask_b32_e64 v71, 0x7f800000, v68, s0
	v_cmp_ngt_f32_e64 s0, 0xc2ce8ed0, v78
	ds_load_b128 v[50:53], v37 offset:64
	ds_load_b128 v[66:69], v37 offset:80
	v_pk_fma_f32 v[42:43], v[30:31], v[42:43], v[72:73]
	v_ldexp_f32 v1, v94, v1
	v_pk_fma_f32 v[30:31], v[32:33], v[70:71], v[74:75]
	v_cndmask_b32_e64 v32, 0, v91, s0
	v_cmp_ngt_f32_e64 s0, 0xc2ce8ed0, v79
	ds_load_b128 v[70:73], v37 offset:96
	ds_load_b128 v[74:77], v37 offset:112
	v_cndmask_b32_e64 v33, 0, v92, s0
	v_cmp_ngt_f32_e64 s0, 0xc2ce8ed0, v80
	s_delay_alu instid0(VALU_DEP_1) | instskip(SKIP_3) | instid1(VALU_DEP_2)
	v_cndmask_b32_e64 v47, 0, v93, s0
	v_cmp_ngt_f32_e64 s0, 0xc2ce8ed0, v81
	s_wait_dscnt 0x3
	v_fma_f32 v93, v50, v42, 0
	v_cndmask_b32_e64 v49, 0, v90, s0
	v_cmp_ngt_f32_e64 s0, 0xc2ce8ed0, v83
	v_pk_mul_f32 v[54:55], v[46:47], v[54:55] op_sel_hi:[0,1]
	s_delay_alu instid0(VALU_DEP_2) | instskip(SKIP_1) | instid1(VALU_DEP_1)
	v_dual_fmac_f32 v93, v51, v43 :: v_dual_cndmask_b32 v90, 0, v97, s0
	v_cmp_ngt_f32_e64 s0, 0xc2ce8ed0, v82
	v_dual_fmac_f32 v93, v52, v30 :: v_dual_cndmask_b32 v91, 0, v95, s0
	v_cmp_ngt_f32_e64 s0, 0xc2ce8ed0, v85
	s_delay_alu instid0(VALU_DEP_1) | instskip(SKIP_1) | instid1(VALU_DEP_1)
	v_dual_fmac_f32 v93, v53, v31 :: v_dual_cndmask_b32 v92, 0, v98, s0
	v_cmp_nlt_f32_e64 s0, 0x42b17218, v78
	v_cndmask_b32_e64 v32, 0x7f800000, v32, s0
	v_cmp_nlt_f32_e64 s0, 0x42b17218, v79
	s_delay_alu instid0(VALU_DEP_1) | instskip(SKIP_1) | instid1(VALU_DEP_2)
	v_cndmask_b32_e64 v33, 0x7f800000, v33, s0
	v_cmp_ngt_f32_e64 s0, 0xc2ce8ed0, v84
	v_pk_fma_f32 v[26:27], v[26:27], v[32:33], v[54:55]
	s_delay_alu instid0(VALU_DEP_2) | instskip(SKIP_4) | instid1(VALU_DEP_3)
	v_cndmask_b32_e64 v78, 0, v104, s0
	v_cmp_nlt_f32_e64 s0, 0x42b17218, v80
	v_pk_mul_f32 v[32:33], v[46:47], v[56:57] op_sel_hi:[0,1]
	s_wait_dscnt 0x2
	v_pk_mul_f32 v[54:55], v[66:67], v[26:27]
	v_cndmask_b32_e64 v50, 0x7f800000, v47, s0
	v_cmp_nlt_f32_e64 s0, 0x42b17218, v81
	s_delay_alu instid0(VALU_DEP_1) | instskip(SKIP_1) | instid1(VALU_DEP_2)
	v_cndmask_b32_e64 v51, 0x7f800000, v49, s0
	v_cmp_ngt_f32_e64 s0, 0xc2ce8ed0, v86
	v_pk_fma_f32 v[28:29], v[28:29], v[50:51], v[32:33]
	s_delay_alu instid0(VALU_DEP_2) | instskip(SKIP_1) | instid1(VALU_DEP_3)
	v_cndmask_b32_e64 v47, 0, v99, s0
	v_cmp_nlt_f32_e64 s0, 0x42b17218, v82
	v_pk_mul_f32 v[50:51], v[68:69], v[28:29]
	s_delay_alu instid0(VALU_DEP_2) | instskip(SKIP_1) | instid1(VALU_DEP_1)
	v_cndmask_b32_e64 v52, 0x7f800000, v91, s0
	v_cmp_nlt_f32_e64 s0, 0x42b17218, v83
	v_cndmask_b32_e64 v53, 0x7f800000, v90, s0
	v_cmp_ngt_f32_e64 s0, 0xc2ce8ed0, v87
	s_delay_alu instid0(VALU_DEP_1) | instskip(SKIP_3) | instid1(VALU_DEP_3)
	v_cndmask_b32_e64 v56, 0, v100, s0
	v_cmp_nlt_f32_e64 s0, 0x42b17218, v84
	v_add_f32_e32 v49, v93, v54
	v_pk_mul_f32 v[32:33], v[46:47], v[58:59] op_sel_hi:[0,1]
	v_cndmask_b32_e64 v54, 0x7f800000, v78, s0
	v_cmp_nlt_f32_e64 s0, 0x42b17218, v85
	s_delay_alu instid0(VALU_DEP_4) | instskip(NEXT) | instid1(VALU_DEP_4)
	v_add_f32_e32 v49, v49, v55
	v_pk_fma_f32 v[32:33], v[22:23], v[52:53], v[32:33]
	v_pk_mul_f32 v[22:23], v[46:47], v[60:61] op_sel_hi:[0,1]
	s_delay_alu instid0(VALU_DEP_4) | instskip(SKIP_3) | instid1(VALU_DEP_3)
	v_cndmask_b32_e64 v55, 0x7f800000, v92, s0
	v_cmp_ngt_f32_e64 s0, 0xc2ce8ed0, v88
	s_wait_dscnt 0x1
	v_pk_mul_f32 v[52:53], v[70:71], v[32:33]
	v_pk_fma_f32 v[22:23], v[24:25], v[54:55], v[22:23]
	s_delay_alu instid0(VALU_DEP_3) | instskip(SKIP_2) | instid1(VALU_DEP_4)
	v_cndmask_b32_e64 v57, 0, v101, s0
	v_cmp_nlt_f32_e64 s0, 0x42b17218, v86
	v_add_f32_e32 v49, v49, v50
	v_pk_mul_f32 v[54:55], v[72:73], v[22:23]
	s_delay_alu instid0(VALU_DEP_3) | instskip(SKIP_1) | instid1(VALU_DEP_4)
	v_cndmask_b32_e64 v50, 0x7f800000, v47, s0
	v_cmp_nlt_f32_e64 s0, 0x42b17218, v87
	v_add_f32_e32 v49, v49, v51
	s_delay_alu instid0(VALU_DEP_2) | instskip(SKIP_1) | instid1(VALU_DEP_1)
	v_cndmask_b32_e64 v51, 0x7f800000, v56, s0
	v_cmp_ngt_f32_e64 s0, 0xc2ce8ed0, v89
	v_dual_cndmask_b32 v1, 0, v1, s0 :: v_dual_add_f32 v47, v49, v52
	v_cmp_nlt_f32_e64 s0, 0x42b17218, v88
	s_delay_alu instid0(VALU_DEP_2) | instskip(SKIP_1) | instid1(VALU_DEP_3)
	v_pk_mul_f32 v[24:25], v[46:47], v[62:63] op_sel_hi:[0,1]
	v_add_f32_e32 v47, v47, v53
	v_cndmask_b32_e64 v52, 0x7f800000, v57, s0
	v_cmp_nlt_f32_e64 s0, 0x42b17218, v89
	s_delay_alu instid0(VALU_DEP_4) | instskip(NEXT) | instid1(VALU_DEP_4)
	v_pk_fma_f32 v[18:19], v[18:19], v[50:51], v[24:25]
	v_add_f32_e32 v49, v47, v54
	v_pk_mul_f32 v[24:25], v[46:47], v[64:65] op_sel_hi:[0,1]
	s_delay_alu instid0(VALU_DEP_4)
	v_cndmask_b32_e64 v53, 0x7f800000, v1, s0
	s_wait_kmcnt 0x0
	s_mul_u64 s[0:1], s[34:35], s[6:7]
	s_wait_dscnt 0x0
	v_pk_mul_f32 v[46:47], v[74:75], v[18:19]
	v_add_f32_e32 v1, v49, v55
	s_mul_u64 s[0:1], s[0:1], 12
	v_pk_fma_f32 v[20:21], v[20:21], v[52:53], v[24:25]
	s_add_nc_u64 s[0:1], s[18:19], s[0:1]
	s_delay_alu instid0(VALU_DEP_2) | instskip(SKIP_1) | instid1(VALU_DEP_2)
	v_add_f32_e32 v1, v1, v46
	s_add_nc_u64 s[0:1], s[0:1], s[12:13]
	v_pk_mul_f32 v[24:25], v[76:77], v[20:21]
	s_delay_alu instid0(VALU_DEP_2) | instskip(NEXT) | instid1(VALU_DEP_1)
	v_add_f32_e32 v1, v1, v47
	v_add_f32_e32 v1, v1, v24
	s_delay_alu instid0(VALU_DEP_1)
	v_add_f32_e32 v1, v1, v25
	global_store_b32 v0, v1, s[0:1] scale_offset
	s_wait_storecnt 0x0
	s_barrier_signal -1
	s_barrier_wait -1
	s_wait_xcnt 0x0
	s_and_saveexec_b32 s7, vcc_lo
	s_cbranch_execz .LBB4_6
; %bb.5:
	v_lshl_add_u64 v[0:1], s[8:9], 2, v[40:41]
	v_lshl_add_u64 v[24:25], s[2:3], 2, v[38:39]
	global_load_b32 v46, v[0:1], off
	global_load_b32 v47, v[24:25], off
	s_wait_loadcnt 0x1
	ds_store_b32 v36, v46
	s_wait_loadcnt 0x0
	ds_store_b32 v48, v47
.LBB4_6:
	s_or_b32 exec_lo, exec_lo, s7
	s_ashr_i32 s12, s24, 2
	s_wait_dscnt 0x0
	s_ashr_i32 s13, s12, 31
	s_barrier_signal -1
	v_lshl_add_u64 v[24:25], s[12:13], 2, v[44:45]
	s_barrier_wait -1
	v_add_nc_u64_e32 v[44:45], s[14:15], v[36:37]
	v_add_nc_u64_e32 v[0:1], s[0:1], v[36:37]
	global_load_b32 v46, v[24:25], off
	s_mov_b32 s1, exec_lo
	s_wait_loadcnt 0x0
	v_cmpx_ge_f32_e32 0x41a00000, v46
	s_cbranch_execz .LBB4_8
; %bb.7:
	v_mul_f32_e32 v37, 0x3fb8aa3b, v46
	v_cmp_ngt_f32_e64 s0, 0xc2ce8ed0, v46
	s_delay_alu instid0(VALU_DEP_2) | instskip(SKIP_1) | instid1(VALU_DEP_2)
	v_rndne_f32_e32 v47, v37
	v_fma_f32 v49, 0x3fb8aa3b, v46, -v37
	v_sub_f32_e32 v37, v37, v47
	s_delay_alu instid0(VALU_DEP_2) | instskip(SKIP_1) | instid1(VALU_DEP_2)
	v_fmamk_f32 v49, v46, 0x32a5705f, v49
	v_cvt_i32_f32_e32 v47, v47
	v_add_f32_e32 v37, v37, v49
	s_delay_alu instid0(VALU_DEP_1) | instskip(SKIP_1) | instid1(TRANS32_DEP_1)
	v_exp_f32_e32 v37, v37
	v_nop
	v_ldexp_f32 v37, v37, v47
	s_delay_alu instid0(VALU_DEP_1) | instskip(SKIP_1) | instid1(VALU_DEP_1)
	v_cndmask_b32_e64 v37, 0, v37, s0
	v_cmp_nlt_f32_e64 s0, 0x42b17218, v46
	v_cndmask_b32_e64 v49, 0x7f800000, v37, s0
	s_delay_alu instid0(VALU_DEP_1) | instskip(NEXT) | instid1(VALU_DEP_1)
	v_add_f32_e32 v37, 1.0, v49
	v_cvt_f64_f32_e32 v[46:47], v37
	s_delay_alu instid0(VALU_DEP_1) | instskip(SKIP_1) | instid1(VALU_DEP_1)
	v_frexp_exp_i32_f64_e32 v46, v[46:47]
	v_frexp_mant_f32_e32 v47, v37
	v_cmp_gt_f32_e64 s0, 0x3f2aaaab, v47
	s_delay_alu instid0(VALU_DEP_1) | instskip(SKIP_2) | instid1(VALU_DEP_1)
	v_subrev_co_ci_u32_e64 v54, null, 0, v46, s0
	v_add_f32_e32 v46, -1.0, v37
	s_mov_b32 s0, 0x3e9b6dac
	v_dual_sub_f32 v50, v46, v37 :: v_dual_sub_nc_u32 v47, 0, v54
	v_sub_f32_e32 v46, v49, v46
	s_delay_alu instid0(VALU_DEP_2) | instskip(NEXT) | instid1(VALU_DEP_1)
	v_ldexp_f32 v37, v37, v47
	v_dual_add_f32 v51, 1.0, v37 :: v_dual_add_f32 v50, 1.0, v50
	s_delay_alu instid0(VALU_DEP_1) | instskip(SKIP_1) | instid1(VALU_DEP_2)
	v_dual_add_f32 v46, v46, v50 :: v_dual_add_f32 v50, -1.0, v51
	v_add_f32_e32 v53, -1.0, v37
	v_ldexp_f32 v46, v46, v47
	s_delay_alu instid0(VALU_DEP_2) | instskip(NEXT) | instid1(VALU_DEP_1)
	v_dual_sub_f32 v47, v37, v50 :: v_dual_add_f32 v50, 1.0, v53
	v_dual_add_f32 v52, v46, v47 :: v_dual_sub_f32 v37, v37, v50
	s_delay_alu instid0(VALU_DEP_1) | instskip(NEXT) | instid1(VALU_DEP_1)
	v_add_f32_e32 v55, v51, v52
	v_rcp_f32_e32 v56, v55
	s_delay_alu instid0(VALU_DEP_2) | instskip(NEXT) | instid1(VALU_DEP_1)
	v_dual_add_f32 v37, v46, v37 :: v_dual_sub_f32 v46, v51, v55
	v_dual_add_f32 v47, v53, v37 :: v_dual_add_f32 v58, v52, v46
	s_delay_alu instid0(TRANS32_DEP_1) | instid1(VALU_DEP_1)
	v_dual_mul_f32 v57, v47, v56 :: v_dual_sub_f32 v59, v53, v47
	s_delay_alu instid0(VALU_DEP_1) | instskip(NEXT) | instid1(VALU_DEP_1)
	v_dual_mul_f32 v50, v55, v57 :: v_dual_add_f32 v37, v37, v59
	v_fma_f32 v52, v57, v55, -v50
	s_delay_alu instid0(VALU_DEP_1) | instskip(NEXT) | instid1(VALU_DEP_1)
	v_fmac_f32_e32 v52, v57, v58
	v_add_f32_e32 v46, v50, v52
	s_delay_alu instid0(VALU_DEP_1) | instskip(NEXT) | instid1(VALU_DEP_1)
	v_dual_sub_f32 v51, v47, v46 :: v_dual_mov_b32 v53, v46
	v_pk_add_f32 v[46:47], v[46:47], v[50:51] neg_lo:[0,1] neg_hi:[0,1]
	s_delay_alu instid0(VALU_DEP_1) | instskip(NEXT) | instid1(VALU_DEP_1)
	v_pk_add_f32 v[46:47], v[46:47], v[52:53] neg_lo:[0,1] neg_hi:[0,1]
	v_add_f32_e32 v37, v37, v47
	s_delay_alu instid0(VALU_DEP_1) | instskip(NEXT) | instid1(VALU_DEP_1)
	v_add_f32_e32 v37, v46, v37
	v_add_f32_e32 v47, v51, v37
	s_delay_alu instid0(VALU_DEP_1) | instskip(NEXT) | instid1(VALU_DEP_1)
	v_mul_f32_e32 v59, v56, v47
	v_mul_f32_e32 v52, v55, v59
	s_delay_alu instid0(VALU_DEP_1) | instskip(NEXT) | instid1(VALU_DEP_1)
	v_fma_f32 v50, v59, v55, -v52
	v_fmac_f32_e32 v50, v59, v58
	s_delay_alu instid0(VALU_DEP_1) | instskip(NEXT) | instid1(VALU_DEP_1)
	v_dual_add_f32 v46, v52, v50 :: v_dual_sub_f32 v55, v51, v47
	v_dual_sub_f32 v53, v47, v46 :: v_dual_add_f32 v37, v37, v55
	v_mov_b32_e32 v51, v46
	s_delay_alu instid0(VALU_DEP_2) | instskip(NEXT) | instid1(VALU_DEP_1)
	v_pk_add_f32 v[46:47], v[46:47], v[52:53] neg_lo:[0,1] neg_hi:[0,1]
	v_pk_add_f32 v[46:47], v[46:47], v[50:51] neg_lo:[0,1] neg_hi:[0,1]
	v_cvt_f32_i32_e32 v50, v54
	s_delay_alu instid0(VALU_DEP_2) | instskip(NEXT) | instid1(VALU_DEP_1)
	v_add_f32_e32 v37, v37, v47
	v_dual_add_f32 v52, v57, v59 :: v_dual_add_f32 v37, v46, v37
	s_delay_alu instid0(VALU_DEP_1) | instskip(NEXT) | instid1(VALU_DEP_1)
	v_sub_f32_e32 v46, v52, v57
	v_dual_add_f32 v37, v53, v37 :: v_dual_sub_f32 v46, v59, v46
	s_delay_alu instid0(VALU_DEP_1) | instskip(NEXT) | instid1(VALU_DEP_1)
	v_mul_f32_e32 v37, v56, v37
	v_dual_add_f32 v37, v46, v37 :: v_dual_mov_b32 v46, 0x3f317218
	s_delay_alu instid0(VALU_DEP_1) | instskip(NEXT) | instid1(VALU_DEP_1)
	v_add_f32_e32 v53, v52, v37
	v_mul_f32_e32 v47, v53, v53
	s_delay_alu instid0(VALU_DEP_1) | instskip(SKIP_2) | instid1(VALU_DEP_3)
	v_fmaak_f32 v55, s0, v47, 0x3ecc95a3
	v_mul_f32_e32 v51, v53, v47
	v_cmp_neq_f32_e64 s0, 0x7f800000, v49
	v_fmaak_f32 v47, v47, v55, 0x3f2aaada
	s_delay_alu instid0(VALU_DEP_1) | instskip(NEXT) | instid1(VALU_DEP_1)
	v_pk_mul_f32 v[46:47], v[50:51], v[46:47]
	v_fma_f32 v54, 0x3f317218, v50, -v46
	s_delay_alu instid0(VALU_DEP_1) | instskip(SKIP_2) | instid1(VALU_DEP_2)
	v_fmamk_f32 v50, v50, 0xb102e308, v54
	v_ldexp_f32 v51, v53, 1
	v_sub_f32_e32 v54, v53, v52
	v_pk_add_f32 v[52:53], v[46:47], v[50:51]
	s_delay_alu instid0(VALU_DEP_1) | instskip(NEXT) | instid1(VALU_DEP_3)
	v_sub_f32_e32 v51, v53, v51
	v_dual_sub_f32 v37, v37, v54 :: v_dual_mov_b32 v54, v46
	s_delay_alu instid0(VALU_DEP_2) | instskip(NEXT) | instid1(VALU_DEP_2)
	v_dual_mov_b32 v62, v53 :: v_dual_sub_f32 v51, v47, v51
	v_ldexp_f32 v37, v37, 1
	v_pk_add_f32 v[46:47], v[52:53], v[46:47] neg_lo:[0,1] neg_hi:[0,1]
	s_delay_alu instid0(VALU_DEP_2) | instskip(NEXT) | instid1(VALU_DEP_1)
	v_dual_add_f32 v55, v37, v51 :: v_dual_mov_b32 v51, v52
	v_pk_add_f32 v[56:57], v[52:53], v[54:55]
	s_delay_alu instid0(VALU_DEP_1) | instskip(NEXT) | instid1(VALU_DEP_1)
	v_mov_b32_e32 v47, v57
	v_pk_add_f32 v[58:59], v[50:51], v[46:47]
	v_pk_add_f32 v[46:47], v[50:51], v[46:47] neg_lo:[0,1] neg_hi:[0,1]
	s_delay_alu instid0(VALU_DEP_2) | instskip(NEXT) | instid1(VALU_DEP_1)
	v_dual_mov_b32 v54, v59 :: v_dual_mov_b32 v47, v59
	v_pk_add_f32 v[60:61], v[54:55], v[52:53] neg_lo:[0,1] neg_hi:[0,1]
	v_dual_mov_b32 v58, v57 :: v_dual_mov_b32 v53, v52
	s_delay_alu instid0(VALU_DEP_2) | instskip(SKIP_1) | instid1(VALU_DEP_2)
	v_dual_mov_b32 v52, v55 :: v_dual_mov_b32 v63, v60
	v_mov_b32_e32 v37, v60
	v_pk_add_f32 v[60:61], v[58:59], v[62:63] neg_lo:[0,1] neg_hi:[0,1]
	s_delay_alu instid0(VALU_DEP_2) | instskip(SKIP_1) | instid1(VALU_DEP_3)
	v_pk_add_f32 v[50:51], v[56:57], v[36:37] neg_lo:[0,1] neg_hi:[0,1]
	v_mov_b32_e32 v50, v46
	v_pk_add_f32 v[52:53], v[52:53], v[60:61] neg_lo:[0,1] neg_hi:[0,1]
	s_delay_alu instid0(VALU_DEP_1) | instskip(NEXT) | instid1(VALU_DEP_1)
	v_pk_add_f32 v[50:51], v[50:51], v[52:53]
	v_mov_b32_e32 v56, v51
	s_delay_alu instid0(VALU_DEP_1) | instskip(NEXT) | instid1(VALU_DEP_1)
	v_pk_add_f32 v[56:57], v[50:51], v[56:57]
	v_pk_add_f32 v[54:55], v[54:55], v[56:57]
	s_delay_alu instid0(VALU_DEP_1) | instskip(NEXT) | instid1(VALU_DEP_1)
	v_dual_mov_b32 v53, v56 :: v_dual_mov_b32 v51, v54
	v_pk_add_f32 v[58:59], v[50:51], v[46:47] neg_lo:[0,1] neg_hi:[0,1]
	s_delay_alu instid0(VALU_DEP_1) | instskip(NEXT) | instid1(VALU_DEP_2)
	v_sub_f32_e32 v37, v50, v58
	v_pk_add_f32 v[50:51], v[52:53], v[58:59] neg_lo:[0,1] neg_hi:[0,1]
	s_delay_alu instid0(VALU_DEP_2) | instskip(NEXT) | instid1(VALU_DEP_1)
	v_sub_f32_e32 v37, v46, v37
	v_add_f32_e32 v37, v50, v37
	s_delay_alu instid0(VALU_DEP_1) | instskip(NEXT) | instid1(VALU_DEP_1)
	v_add_f32_e32 v37, v37, v51
	v_add_f32_e32 v37, v54, v37
	s_delay_alu instid0(VALU_DEP_1) | instskip(SKIP_1) | instid1(VALU_DEP_1)
	v_cndmask_b32_e64 v37, 0x7f800000, v37, s0
	v_cmp_gt_f32_e64 s0, 0x33800000, v49
	v_cndmask_b32_e64 v46, v37, v49, s0
.LBB4_8:
	s_or_b32 exec_lo, exec_lo, s1
	s_ashr_i32 s14, s22, 2
	s_delay_alu instid0(VALU_DEP_1)
	v_dual_mul_f32 v47, v46, v14 :: v_dual_mov_b32 v49, 0
	s_ashr_i32 s15, s14, 31
	v_dual_mul_f32 v83, v46, v15 :: v_dual_mul_f32 v84, v46, v16
	v_lshl_add_u64 v[44:45], s[14:15], 2, v[44:45]
	v_dual_mul_f32 v85, v46, v17 :: v_dual_mul_f32 v86, v46, v10
	v_dual_mul_f32 v97, v46, v5 :: v_dual_mul_f32 v66, 0x3fb8aa3b, v47
	global_load_b32 v37, v[44:45], off
	v_dual_mul_f32 v67, 0x3fb8aa3b, v83 :: v_dual_mul_f32 v68, 0x3fb8aa3b, v84
	v_dual_mul_f32 v87, v46, v11 :: v_dual_mul_f32 v88, v46, v12
	;; [unrolled: 1-line block ×3, first 2 shown]
	v_fma_f32 v82, 0x3fb8aa3b, v47, -v66
	v_rndne_f32_e32 v98, v66
	v_fma_f32 v99, 0x3fb8aa3b, v83, -v67
	v_rndne_f32_e32 v100, v67
	v_dual_mul_f32 v89, v46, v13 :: v_dual_mul_f32 v90, v46, v6
	v_dual_mul_f32 v91, v46, v7 :: v_dual_mul_f32 v92, v46, v8
	;; [unrolled: 1-line block ×3, first 2 shown]
	v_dual_mul_f32 v81, 0x3fb8aa3b, v97 :: v_dual_sub_f32 v66, v66, v98
	v_fma_f32 v101, 0x3fb8aa3b, v84, -v68
	v_rndne_f32_e32 v102, v68
	v_fma_f32 v103, 0x3fb8aa3b, v85, -v69
	v_fma_f32 v104, 0x3fb8aa3b, v86, -v70
	v_dual_fmac_f32 v82, 0x32a5705f, v47 :: v_dual_sub_f32 v67, v67, v100
	v_fmac_f32_e32 v99, 0x32a5705f, v83
	v_rndne_f32_e32 v116, v69
	v_rndne_f32_e32 v117, v70
	v_dual_mul_f32 v73, 0x3fb8aa3b, v89 :: v_dual_mul_f32 v74, 0x3fb8aa3b, v90
	v_dual_mul_f32 v75, 0x3fb8aa3b, v91 :: v_dual_mul_f32 v76, 0x3fb8aa3b, v92
	v_fma_f32 v105, 0x3fb8aa3b, v87, -v71
	v_fma_f32 v106, 0x3fb8aa3b, v88, -v72
	v_add_f32_e32 v66, v66, v82
	v_rndne_f32_e32 v82, v71
	v_dual_add_f32 v67, v67, v99 :: v_dual_sub_f32 v68, v68, v102
	v_rndne_f32_e32 v99, v72
	v_dual_fmac_f32 v101, 0x32a5705f, v84 :: v_dual_fmac_f32 v104, 0x32a5705f, v86
	v_dual_sub_f32 v69, v69, v116 :: v_dual_sub_f32 v70, v70, v117
	v_fmac_f32_e32 v103, 0x32a5705f, v85
	v_dual_mul_f32 v93, v46, v9 :: v_dual_mul_f32 v94, v46, v2
	v_dual_mul_f32 v95, v46, v3 :: v_dual_mul_f32 v96, v46, v4
	v_fma_f32 v107, 0x3fb8aa3b, v89, -v73
	v_fma_f32 v108, 0x3fb8aa3b, v90, -v74
	;; [unrolled: 1-line block ×3, first 2 shown]
	v_rndne_f32_e32 v118, v74
	v_dual_add_f32 v104, v70, v104 :: v_dual_add_f32 v68, v68, v101
	v_add_f32_e32 v103, v69, v103
	v_rndne_f32_e32 v101, v73
	v_rndne_f32_e32 v119, v75
	v_dual_fmac_f32 v105, 0x32a5705f, v87 :: v_dual_fmac_f32 v106, 0x32a5705f, v88
	v_dual_sub_f32 v69, v71, v82 :: v_dual_sub_f32 v70, v72, v99
	v_dual_mul_f32 v77, 0x3fb8aa3b, v93 :: v_dual_mul_f32 v78, 0x3fb8aa3b, v94
	v_dual_mul_f32 v79, 0x3fb8aa3b, v95 :: v_dual_mul_f32 v80, 0x3fb8aa3b, v96
	v_fma_f32 v110, 0x3fb8aa3b, v92, -v76
	s_delay_alu instid0(VALU_DEP_4)
	v_dual_fmac_f32 v107, 0x32a5705f, v89 :: v_dual_add_f32 v106, v70, v106
	v_dual_sub_f32 v71, v73, v101 :: v_dual_fmac_f32 v108, 0x32a5705f, v90
	v_add_f32_e32 v105, v69, v105
	v_rndne_f32_e32 v120, v76
	v_dual_sub_f32 v69, v74, v118 :: v_dual_sub_f32 v70, v75, v119
	v_dual_fmac_f32 v109, 0x32a5705f, v91 :: v_dual_fmac_f32 v110, 0x32a5705f, v92
	v_fma_f32 v111, 0x3fb8aa3b, v93, -v77
	v_fma_f32 v113, 0x3fb8aa3b, v95, -v79
	;; [unrolled: 1-line block ×3, first 2 shown]
	v_rndne_f32_e32 v121, v77
	v_dual_add_f32 v107, v71, v107 :: v_dual_sub_f32 v71, v76, v120
	v_dual_add_f32 v75, v70, v109 :: v_dual_add_f32 v74, v69, v108
	v_rndne_f32_e32 v108, v79
	v_rndne_f32_e32 v109, v80
	v_fma_f32 v112, 0x3fb8aa3b, v94, -v78
	v_fma_f32 v115, 0x3fb8aa3b, v97, -v81
	v_rndne_f32_e32 v122, v78
	v_add_f32_e32 v110, v71, v110
	v_rndne_f32_e32 v123, v81
	v_dual_fmac_f32 v111, 0x32a5705f, v93 :: v_dual_fmac_f32 v112, 0x32a5705f, v94
	v_dual_fmac_f32 v113, 0x32a5705f, v95 :: v_dual_fmac_f32 v114, 0x32a5705f, v96
	v_dual_sub_f32 v69, v77, v121 :: v_dual_sub_f32 v71, v79, v108
	s_delay_alu instid0(VALU_DEP_4)
	v_dual_sub_f32 v72, v80, v109 :: v_dual_sub_f32 v73, v81, v123
	v_dual_fmac_f32 v115, 0x32a5705f, v97 :: v_dual_sub_f32 v70, v78, v122
	v_cvt_i32_f32_e32 v76, v98
	v_cvt_i32_f32_e32 v78, v102
	v_add_f32_e32 v98, v69, v111
	v_exp_f32_e32 v66, v66
	v_exp_f32_e32 v67, v67
	;; [unrolled: 1-line block ×3, first 2 shown]
	v_dual_add_f32 v102, v71, v113 :: v_dual_add_f32 v111, v72, v114
	v_cvt_i32_f32_e32 v77, v100
	v_add_f32_e32 v100, v70, v112
	v_cvt_i32_f32_e32 v79, v99
	v_cvt_i32_f32_e32 v80, v101
	v_exp_f32_e32 v99, v103
	v_exp_f32_e32 v101, v104
	;; [unrolled: 1-line block ×9, first 2 shown]
	v_ldexp_f32 v113, v66, v76
	v_ldexp_f32 v114, v67, v77
	v_cvt_i32_f32_e32 v76, v116
	v_cvt_i32_f32_e32 v77, v117
	;; [unrolled: 1-line block ×5, first 2 shown]
	v_cmp_ngt_f32_e64 s0, 0xc2ce8ed0, v47
	v_add_f32_e32 v112, v73, v115
	v_ldexp_f32 v115, v68, v78
	v_cvt_i32_f32_e32 v78, v82
	v_cvt_i32_f32_e32 v82, v119
	v_exp_f32_e32 v110, v110
	ds_load_b128 v[50:53], v49
	ds_load_b128 v[54:57], v49 offset:16
	ds_load_b128 v[58:61], v49 offset:64
	;; [unrolled: 1-line block ×5, first 2 shown]
	v_ldexp_f32 v99, v99, v76
	v_ldexp_f32 v101, v101, v77
	;; [unrolled: 1-line block ×7, first 2 shown]
	ds_load_b128 v[74:77], v49 offset:96
	ds_load_b128 v[78:81], v49 offset:112
	v_cvt_i32_f32_e32 v49, v120
	v_ldexp_f32 v98, v98, v107
	v_ldexp_f32 v107, v111, v109
	v_cndmask_b32_e64 v109, 0, v113, s0
	v_cmp_ngt_f32_e64 s0, 0xc2ce8ed0, v83
	v_ldexp_f32 v49, v110, v49
	v_exp_f32_e32 v102, v102
	v_exp_f32_e32 v112, v112
	v_cvt_i32_f32_e32 v108, v108
	v_cndmask_b32_e64 v110, 0, v114, s0
	v_cmp_ngt_f32_e64 s0, 0xc2ce8ed0, v84
	v_cvt_i32_f32_e32 v117, v123
	v_exp_f32_e32 v100, v100
	v_ldexp_f32 v102, v102, v108
	v_cvt_i32_f32_e32 v116, v122
	v_cndmask_b32_e64 v111, 0, v115, s0
	v_cmp_ngt_f32_e64 s0, 0xc2ce8ed0, v85
	v_ldexp_f32 v108, v112, v117
	s_mov_b32 s1, s6
	v_ldexp_f32 v100, v100, v116
	v_cndmask_b32_e64 v99, 0, v99, s0
	v_cmp_ngt_f32_e64 s0, 0xc2ce8ed0, v86
	s_delay_alu instid0(VALU_DEP_1) | instskip(SKIP_1) | instid1(VALU_DEP_1)
	v_cndmask_b32_e64 v101, 0, v101, s0
	v_cmp_ngt_f32_e64 s0, 0xc2ce8ed0, v87
	v_cndmask_b32_e64 v103, 0, v103, s0
	v_cmp_ngt_f32_e64 s0, 0xc2ce8ed0, v88
	s_delay_alu instid0(VALU_DEP_1) | instskip(SKIP_1) | instid1(VALU_DEP_1)
	v_cndmask_b32_e64 v104, 0, v104, s0
	v_cmp_ngt_f32_e64 s0, 0xc2ce8ed0, v89
	;; [unrolled: 5-line block ×3, first 2 shown]
	v_cndmask_b32_e64 v112, 0, v82, s0
	v_cmp_nlt_f32_e64 s0, 0x42b17218, v47
	s_wait_loadcnt 0x0
	v_mul_f32_e32 v82, v46, v37
	s_delay_alu instid0(VALU_DEP_2) | instskip(SKIP_2) | instid1(VALU_DEP_3)
	v_cndmask_b32_e64 v46, 0x7f800000, v109, s0
	v_cmp_nlt_f32_e64 s0, 0x42b17218, v83
	s_wait_dscnt 0x7
	v_pk_mul_f32 v[50:51], v[82:83], v[50:51] op_sel_hi:[0,1]
	s_delay_alu instid0(VALU_DEP_2) | instskip(SKIP_1) | instid1(VALU_DEP_2)
	v_cndmask_b32_e64 v47, 0x7f800000, v110, s0
	v_cmp_ngt_f32_e64 s0, 0xc2ce8ed0, v92
	v_pk_fma_f32 v[46:47], v[42:43], v[46:47], v[50:51]
	s_delay_alu instid0(VALU_DEP_2)
	v_cndmask_b32_e64 v37, 0, v49, s0
	v_cmp_nlt_f32_e64 s0, 0x42b17218, v84
	v_pk_mul_f32 v[42:43], v[82:83], v[52:53] op_sel_hi:[0,1]
	s_wait_dscnt 0x6
	v_pk_mul_f32 v[52:53], v[82:83], v[54:55] op_sel_hi:[0,1]
	s_wait_dscnt 0x5
	v_fma_f32 v49, v58, v46, 0
	v_cndmask_b32_e64 v84, 0x7f800000, v111, s0
	v_cmp_nlt_f32_e64 s0, 0x42b17218, v85
	s_delay_alu instid0(VALU_DEP_3) | instskip(NEXT) | instid1(VALU_DEP_2)
	v_fmac_f32_e32 v49, v59, v47
	v_cndmask_b32_e64 v85, 0x7f800000, v99, s0
	v_cmp_nlt_f32_e64 s0, 0x42b17218, v86
	s_delay_alu instid0(VALU_DEP_2) | instskip(NEXT) | instid1(VALU_DEP_2)
	v_pk_fma_f32 v[42:43], v[30:31], v[84:85], v[42:43]
	v_cndmask_b32_e64 v50, 0x7f800000, v101, s0
	v_cmp_nlt_f32_e64 s0, 0x42b17218, v87
	s_delay_alu instid0(VALU_DEP_3) | instskip(NEXT) | instid1(VALU_DEP_2)
	v_fmac_f32_e32 v49, v60, v42
	v_cndmask_b32_e64 v51, 0x7f800000, v103, s0
	v_cmp_ngt_f32_e64 s0, 0xc2ce8ed0, v93
	s_delay_alu instid0(VALU_DEP_2) | instskip(NEXT) | instid1(VALU_DEP_2)
	v_pk_fma_f32 v[30:31], v[26:27], v[50:51], v[52:53]
	v_cndmask_b32_e64 v58, 0, v98, s0
	v_cmp_nlt_f32_e64 s0, 0x42b17218, v88
	v_pk_mul_f32 v[26:27], v[82:83], v[56:57] op_sel_hi:[0,1]
	s_wait_dscnt 0x4
	v_pk_mul_f32 v[50:51], v[62:63], v[30:31]
	s_delay_alu instid0(VALU_DEP_3) | instskip(SKIP_1) | instid1(VALU_DEP_1)
	v_cndmask_b32_e64 v54, 0x7f800000, v104, s0
	v_cmp_nlt_f32_e64 s0, 0x42b17218, v89
	v_cndmask_b32_e64 v55, 0x7f800000, v105, s0
	v_cmp_ngt_f32_e64 s0, 0xc2ce8ed0, v94
	s_delay_alu instid0(VALU_DEP_2) | instskip(NEXT) | instid1(VALU_DEP_2)
	v_pk_fma_f32 v[28:29], v[28:29], v[54:55], v[26:27]
	v_cndmask_b32_e64 v56, 0, v100, s0
	v_cmp_nlt_f32_e64 s0, 0x42b17218, v90
	v_fmac_f32_e32 v49, v61, v43
	s_wait_dscnt 0x3
	v_pk_mul_f32 v[26:27], v[82:83], v[66:67] op_sel_hi:[0,1]
	v_pk_mul_f32 v[54:55], v[64:65], v[28:29]
	v_cndmask_b32_e64 v52, 0x7f800000, v106, s0
	v_cmp_nlt_f32_e64 s0, 0x42b17218, v91
	v_add_f32_e32 v49, v49, v50
	s_delay_alu instid0(VALU_DEP_2) | instskip(SKIP_1) | instid1(VALU_DEP_3)
	v_cndmask_b32_e64 v53, 0x7f800000, v112, s0
	v_cmp_ngt_f32_e64 s0, 0xc2ce8ed0, v95
	v_add_f32_e32 v49, v49, v51
	s_delay_alu instid0(VALU_DEP_3) | instskip(NEXT) | instid1(VALU_DEP_3)
	v_pk_fma_f32 v[26:27], v[32:33], v[52:53], v[26:27]
	v_cndmask_b32_e64 v57, 0, v102, s0
	v_cmp_nlt_f32_e64 s0, 0x42b17218, v92
	v_pk_mul_f32 v[32:33], v[82:83], v[68:69] op_sel_hi:[0,1]
	s_wait_dscnt 0x1
	v_pk_mul_f32 v[52:53], v[74:75], v[26:27]
	s_delay_alu instid0(VALU_DEP_3) | instskip(SKIP_1) | instid1(VALU_DEP_1)
	v_cndmask_b32_e64 v50, 0x7f800000, v37, s0
	v_cmp_nlt_f32_e64 s0, 0x42b17218, v93
	v_cndmask_b32_e64 v51, 0x7f800000, v58, s0
	v_cmp_ngt_f32_e64 s0, 0xc2ce8ed0, v96
	v_add_f32_e32 v37, v49, v54
	s_delay_alu instid0(VALU_DEP_3) | instskip(NEXT) | instid1(VALU_DEP_3)
	v_pk_fma_f32 v[32:33], v[22:23], v[50:51], v[32:33]
	v_cndmask_b32_e64 v49, 0, v107, s0
	v_cmp_nlt_f32_e64 s0, 0x42b17218, v94
	s_delay_alu instid0(VALU_DEP_4) | instskip(SKIP_2) | instid1(VALU_DEP_4)
	v_add_f32_e32 v37, v37, v55
	v_pk_mul_f32 v[22:23], v[82:83], v[70:71] op_sel_hi:[0,1]
	v_pk_mul_f32 v[50:51], v[76:77], v[32:33]
	v_cndmask_b32_e64 v54, 0x7f800000, v56, s0
	v_cmp_nlt_f32_e64 s0, 0x42b17218, v95
	v_add_f32_e32 v37, v37, v52
	s_delay_alu instid0(VALU_DEP_2) | instskip(SKIP_1) | instid1(VALU_DEP_3)
	v_cndmask_b32_e64 v55, 0x7f800000, v57, s0
	v_cmp_ngt_f32_e64 s0, 0xc2ce8ed0, v97
	v_add_f32_e32 v37, v37, v53
	s_delay_alu instid0(VALU_DEP_3) | instskip(NEXT) | instid1(VALU_DEP_3)
	v_pk_fma_f32 v[22:23], v[18:19], v[54:55], v[22:23]
	v_cndmask_b32_e64 v53, 0, v108, s0
	v_cmp_nlt_f32_e64 s0, 0x42b17218, v96
	s_delay_alu instid0(VALU_DEP_4)
	v_add_f32_e32 v37, v37, v50
	v_pk_mul_f32 v[18:19], v[82:83], v[72:73] op_sel_hi:[0,1]
	s_wait_dscnt 0x0
	v_pk_mul_f32 v[54:55], v[78:79], v[22:23]
	v_cndmask_b32_e64 v52, 0x7f800000, v49, s0
	v_cmp_nlt_f32_e64 s0, 0x42b17218, v97
	v_add_f32_e32 v37, v37, v51
	s_delay_alu instid0(VALU_DEP_2) | instskip(NEXT) | instid1(VALU_DEP_2)
	v_cndmask_b32_e64 v53, 0x7f800000, v53, s0
	v_add_f32_e32 v37, v37, v54
	s_mov_b32 s0, 0
	s_delay_alu instid0(SALU_CYCLE_1) | instskip(NEXT) | instid1(VALU_DEP_2)
	s_ashr_i64 s[6:7], s[0:1], 30
	v_pk_fma_f32 v[18:19], v[20:21], v[52:53], v[18:19]
	s_delay_alu instid0(VALU_DEP_2) | instskip(SKIP_1) | instid1(VALU_DEP_3)
	v_add_f32_e32 v37, v37, v55
	v_add_nc_u64_e32 v[50:51], s[6:7], v[0:1]
	v_pk_mul_f32 v[20:21], v[80:81], v[18:19]
	s_delay_alu instid0(VALU_DEP_1) | instskip(NEXT) | instid1(VALU_DEP_1)
	v_add_f32_e32 v20, v37, v20
	v_add_f32_e32 v20, v20, v21
	global_store_b32 v[50:51], v20, off
	s_wait_storecnt 0x0
	s_barrier_signal -1
	s_barrier_wait -1
	s_wait_xcnt 0x0
	s_and_saveexec_b32 s6, vcc_lo
	s_cbranch_execz .LBB4_10
; %bb.9:
	v_lshl_add_u64 v[20:21], s[8:9], 3, v[40:41]
	v_lshl_add_u64 v[38:39], s[2:3], 3, v[38:39]
	global_load_b32 v37, v[20:21], off
	global_load_b32 v40, v[38:39], off
	s_wait_loadcnt 0x1
	ds_store_b32 v36, v37
	s_wait_loadcnt 0x0
	ds_store_b32 v48, v40
.LBB4_10:
	s_or_b32 exec_lo, exec_lo, s6
	v_lshl_add_u64 v[20:21], s[12:13], 2, v[24:25]
	s_wait_dscnt 0x0
	s_barrier_signal -1
	s_barrier_wait -1
	global_load_b32 v20, v[20:21], off
	s_mov_b32 s2, exec_lo
	s_wait_loadcnt 0x0
	v_cmpx_ge_f32_e32 0x41a00000, v20
	s_cbranch_execz .LBB4_12
; %bb.11:
	v_mul_f32_e32 v21, 0x3fb8aa3b, v20
	v_cmp_ngt_f32_e32 vcc_lo, 0xc2ce8ed0, v20
	s_mov_b32 s3, 0x3e9b6dac
	s_delay_alu instid0(VALU_DEP_2) | instskip(SKIP_1) | instid1(VALU_DEP_2)
	v_rndne_f32_e32 v24, v21
	v_fma_f32 v25, 0x3fb8aa3b, v20, -v21
	v_sub_f32_e32 v21, v21, v24
	s_delay_alu instid0(VALU_DEP_2) | instskip(SKIP_1) | instid1(VALU_DEP_2)
	v_fmamk_f32 v25, v20, 0x32a5705f, v25
	v_cvt_i32_f32_e32 v24, v24
	v_add_f32_e32 v21, v21, v25
	s_delay_alu instid0(VALU_DEP_1) | instskip(SKIP_1) | instid1(TRANS32_DEP_1)
	v_exp_f32_e32 v21, v21
	v_nop
	v_ldexp_f32 v21, v21, v24
	s_delay_alu instid0(VALU_DEP_1) | instskip(SKIP_1) | instid1(VALU_DEP_2)
	v_cndmask_b32_e32 v21, 0, v21, vcc_lo
	v_cmp_nlt_f32_e32 vcc_lo, 0x42b17218, v20
	v_cndmask_b32_e32 v54, 0x7f800000, v21, vcc_lo
	s_delay_alu instid0(VALU_DEP_1) | instskip(NEXT) | instid1(VALU_DEP_1)
	v_add_f32_e32 v24, 1.0, v54
	v_cvt_f64_f32_e32 v[20:21], v24
	s_delay_alu instid0(VALU_DEP_1) | instskip(SKIP_1) | instid1(VALU_DEP_1)
	v_frexp_exp_i32_f64_e32 v20, v[20:21]
	v_frexp_mant_f32_e32 v21, v24
	v_cmp_gt_f32_e32 vcc_lo, 0x3f2aaaab, v21
	s_delay_alu instid0(VALU_DEP_3) | instskip(NEXT) | instid1(VALU_DEP_1)
	v_subrev_co_ci_u32_e64 v38, null, 0, v20, vcc_lo
	v_dual_add_f32 v20, -1.0, v24 :: v_dual_sub_nc_u32 v21, 0, v38
	v_cmp_neq_f32_e32 vcc_lo, 0x7f800000, v54
	s_delay_alu instid0(VALU_DEP_2) | instskip(SKIP_1) | instid1(VALU_DEP_4)
	v_sub_f32_e32 v25, v20, v24
	v_sub_f32_e32 v20, v54, v20
	v_ldexp_f32 v24, v24, v21
	s_delay_alu instid0(VALU_DEP_1) | instskip(NEXT) | instid1(VALU_DEP_1)
	v_dual_add_f32 v25, 1.0, v25 :: v_dual_add_f32 v37, -1.0, v24
	v_dual_add_f32 v36, 1.0, v24 :: v_dual_add_f32 v20, v20, v25
	s_delay_alu instid0(VALU_DEP_1) | instskip(NEXT) | instid1(VALU_DEP_2)
	v_add_f32_e32 v25, -1.0, v36
	v_ldexp_f32 v20, v20, v21
	s_delay_alu instid0(VALU_DEP_2) | instskip(NEXT) | instid1(VALU_DEP_1)
	v_sub_f32_e32 v21, v24, v25
	v_add_f32_e32 v39, v20, v21
	s_delay_alu instid0(VALU_DEP_1) | instskip(NEXT) | instid1(VALU_DEP_1)
	v_dual_add_f32 v25, 1.0, v37 :: v_dual_add_f32 v40, v36, v39
	v_sub_f32_e32 v21, v24, v25
	s_delay_alu instid0(VALU_DEP_2) | instskip(NEXT) | instid1(VALU_DEP_1)
	v_rcp_f32_e32 v48, v40
	v_add_f32_e32 v41, v20, v21
	s_delay_alu instid0(VALU_DEP_1) | instskip(NEXT) | instid1(VALU_DEP_1)
	v_dual_sub_f32 v20, v36, v40 :: v_dual_add_f32 v21, v37, v41
	v_add_f32_e32 v39, v39, v20
	s_delay_alu instid0(TRANS32_DEP_1) | instid1(VALU_DEP_2)
	v_mul_f32_e32 v49, v21, v48
	v_sub_f32_e32 v50, v37, v21
	s_delay_alu instid0(VALU_DEP_2) | instskip(NEXT) | instid1(VALU_DEP_1)
	v_mul_f32_e32 v24, v40, v49
	v_fma_f32 v36, v49, v40, -v24
	s_delay_alu instid0(VALU_DEP_1) | instskip(NEXT) | instid1(VALU_DEP_1)
	v_fmac_f32_e32 v36, v49, v39
	v_add_f32_e32 v20, v24, v36
	s_delay_alu instid0(VALU_DEP_1) | instskip(NEXT) | instid1(VALU_DEP_1)
	v_dual_sub_f32 v25, v21, v20 :: v_dual_mov_b32 v37, v20
	v_pk_add_f32 v[20:21], v[20:21], v[24:25] neg_lo:[0,1] neg_hi:[0,1]
	s_delay_alu instid0(VALU_DEP_1) | instskip(SKIP_1) | instid1(VALU_DEP_1)
	v_pk_add_f32 v[20:21], v[20:21], v[36:37] neg_lo:[0,1] neg_hi:[0,1]
	v_add_f32_e32 v24, v41, v50
	v_add_f32_e32 v21, v24, v21
	s_delay_alu instid0(VALU_DEP_1) | instskip(NEXT) | instid1(VALU_DEP_1)
	v_add_f32_e32 v41, v20, v21
	v_add_f32_e32 v21, v25, v41
	s_delay_alu instid0(VALU_DEP_1) | instskip(NEXT) | instid1(VALU_DEP_1)
	v_mul_f32_e32 v50, v48, v21
	v_mul_f32_e32 v36, v40, v50
	s_delay_alu instid0(VALU_DEP_1) | instskip(NEXT) | instid1(VALU_DEP_1)
	v_fma_f32 v24, v50, v40, -v36
	v_dual_fmac_f32 v24, v50, v39 :: v_dual_sub_f32 v39, v25, v21
	s_delay_alu instid0(VALU_DEP_1) | instskip(NEXT) | instid1(VALU_DEP_1)
	v_add_f32_e32 v20, v36, v24
	v_dual_sub_f32 v37, v21, v20 :: v_dual_mov_b32 v25, v20
	s_delay_alu instid0(VALU_DEP_1) | instskip(NEXT) | instid1(VALU_DEP_4)
	v_pk_add_f32 v[20:21], v[20:21], v[36:37] neg_lo:[0,1] neg_hi:[0,1]
	v_add_f32_e32 v36, v41, v39
	s_delay_alu instid0(VALU_DEP_2) | instskip(SKIP_1) | instid1(VALU_DEP_2)
	v_pk_add_f32 v[20:21], v[20:21], v[24:25] neg_lo:[0,1] neg_hi:[0,1]
	v_cvt_f32_i32_e32 v24, v38
	v_dual_add_f32 v21, v36, v21 :: v_dual_add_f32 v36, v49, v50
	s_delay_alu instid0(VALU_DEP_1) | instskip(NEXT) | instid1(VALU_DEP_2)
	v_add_f32_e32 v20, v20, v21
	v_sub_f32_e32 v21, v36, v49
	s_delay_alu instid0(VALU_DEP_1) | instskip(NEXT) | instid1(VALU_DEP_1)
	v_dual_sub_f32 v21, v50, v21 :: v_dual_add_f32 v20, v37, v20
	v_mul_f32_e32 v20, v48, v20
	s_delay_alu instid0(VALU_DEP_1) | instskip(NEXT) | instid1(VALU_DEP_1)
	v_dual_add_f32 v39, v21, v20 :: v_dual_mov_b32 v20, 0x3f317218
	v_add_f32_e32 v37, v36, v39
	s_delay_alu instid0(VALU_DEP_1) | instskip(NEXT) | instid1(VALU_DEP_1)
	v_mul_f32_e32 v21, v37, v37
	v_dual_fmaak_f32 v40, s3, v21, 0x3ecc95a3 :: v_dual_mul_f32 v25, v37, v21
	s_delay_alu instid0(VALU_DEP_1) | instskip(NEXT) | instid1(VALU_DEP_1)
	v_fmaak_f32 v21, v21, v40, 0x3f2aaada
	v_pk_mul_f32 v[20:21], v[24:25], v[20:21]
	v_ldexp_f32 v25, v37, 1
	s_delay_alu instid0(VALU_DEP_2) | instskip(NEXT) | instid1(VALU_DEP_1)
	v_fma_f32 v38, 0x3f317218, v24, -v20
	v_fmamk_f32 v24, v24, 0xb102e308, v38
	v_sub_f32_e32 v38, v37, v36
	s_delay_alu instid0(VALU_DEP_2) | instskip(NEXT) | instid1(VALU_DEP_1)
	v_pk_add_f32 v[36:37], v[20:21], v[24:25]
	v_dual_sub_f32 v25, v37, v25 :: v_dual_sub_f32 v38, v39, v38
	s_delay_alu instid0(VALU_DEP_1) | instskip(NEXT) | instid1(VALU_DEP_2)
	v_sub_f32_e32 v25, v21, v25
	v_ldexp_f32 v39, v38, 1
	v_mov_b32_e32 v38, v20
	v_pk_add_f32 v[20:21], v[36:37], v[20:21] neg_lo:[0,1] neg_hi:[0,1]
	s_delay_alu instid0(VALU_DEP_3) | instskip(NEXT) | instid1(VALU_DEP_1)
	v_dual_add_f32 v39, v39, v25 :: v_dual_mov_b32 v25, v36
	v_pk_add_f32 v[40:41], v[36:37], v[38:39]
	s_delay_alu instid0(VALU_DEP_1) | instskip(NEXT) | instid1(VALU_DEP_1)
	v_dual_mov_b32 v52, v37 :: v_dual_mov_b32 v21, v41
	v_pk_add_f32 v[48:49], v[24:25], v[20:21]
	s_delay_alu instid0(VALU_DEP_1) | instskip(SKIP_1) | instid1(VALU_DEP_2)
	v_dual_mov_b32 v48, v41 :: v_dual_mov_b32 v38, v49
	v_pk_add_f32 v[20:21], v[24:25], v[20:21] neg_lo:[0,1] neg_hi:[0,1]
	v_pk_add_f32 v[50:51], v[38:39], v[36:37] neg_lo:[0,1] neg_hi:[0,1]
	v_dual_mov_b32 v37, v36 :: v_dual_mov_b32 v36, v39
	s_delay_alu instid0(VALU_DEP_2) | instskip(NEXT) | instid1(VALU_DEP_1)
	v_dual_mov_b32 v39, v50 :: v_dual_mov_b32 v53, v50
	v_pk_add_f32 v[24:25], v[40:41], v[38:39] neg_lo:[0,1] neg_hi:[0,1]
	s_delay_alu instid0(VALU_DEP_2) | instskip(SKIP_1) | instid1(VALU_DEP_2)
	v_pk_add_f32 v[50:51], v[48:49], v[52:53] neg_lo:[0,1] neg_hi:[0,1]
	v_mov_b32_e32 v24, v20
	v_pk_add_f32 v[36:37], v[36:37], v[50:51] neg_lo:[0,1] neg_hi:[0,1]
	s_delay_alu instid0(VALU_DEP_1) | instskip(NEXT) | instid1(VALU_DEP_1)
	v_pk_add_f32 v[24:25], v[24:25], v[36:37]
	v_mov_b32_e32 v40, v25
	s_delay_alu instid0(VALU_DEP_1) | instskip(NEXT) | instid1(VALU_DEP_1)
	v_pk_add_f32 v[40:41], v[24:25], v[40:41]
	v_pk_add_f32 v[38:39], v[38:39], v[40:41]
	v_dual_mov_b32 v21, v49 :: v_dual_mov_b32 v37, v40
	s_delay_alu instid0(VALU_DEP_2) | instskip(NEXT) | instid1(VALU_DEP_1)
	v_mov_b32_e32 v25, v38
	v_pk_add_f32 v[48:49], v[24:25], v[20:21] neg_lo:[0,1] neg_hi:[0,1]
	s_delay_alu instid0(VALU_DEP_1) | instskip(NEXT) | instid1(VALU_DEP_2)
	v_sub_f32_e32 v21, v24, v48
	v_pk_add_f32 v[24:25], v[36:37], v[48:49] neg_lo:[0,1] neg_hi:[0,1]
	s_delay_alu instid0(VALU_DEP_2) | instskip(NEXT) | instid1(VALU_DEP_1)
	v_sub_f32_e32 v20, v20, v21
	v_add_f32_e32 v20, v24, v20
	s_delay_alu instid0(VALU_DEP_1) | instskip(NEXT) | instid1(VALU_DEP_1)
	v_add_f32_e32 v20, v20, v25
	v_add_f32_e32 v20, v38, v20
	s_delay_alu instid0(VALU_DEP_1) | instskip(SKIP_1) | instid1(VALU_DEP_2)
	v_cndmask_b32_e32 v20, 0x7f800000, v20, vcc_lo
	v_cmp_gt_f32_e32 vcc_lo, 0x33800000, v54
	v_cndmask_b32_e32 v20, v20, v54, vcc_lo
.LBB4_12:
	s_or_b32 exec_lo, exec_lo, s2
	v_lshl_add_u64 v[24:25], s[14:15], 2, v[44:45]
	s_delay_alu instid0(VALU_DEP_2)
	v_dual_mul_f32 v40, v20, v15 :: v_dual_mul_f32 v41, v20, v16
	v_dual_mul_f32 v66, v20, v9 :: v_dual_mul_f32 v67, v20, v2
	global_load_b32 v21, v[24:25], off
	s_wait_xcnt 0x0
	v_dual_mul_f32 v24, v20, v14 :: v_dual_mov_b32 v25, 0
	v_mul_f32_e32 v70, v20, v5
	v_dual_mul_f32 v44, v20, v17 :: v_dual_mul_f32 v45, v20, v10
	s_delay_alu instid0(VALU_DEP_3)
	v_dual_mul_f32 v71, 0x3fb8aa3b, v24 :: v_dual_mul_f32 v60, v20, v11
	v_dual_mul_f32 v61, v20, v12 :: v_dual_mul_f32 v62, v20, v13
	v_dual_mul_f32 v63, v20, v6 :: v_dual_mul_f32 v64, v20, v7
	v_dual_mul_f32 v65, v20, v8 :: v_dual_mul_f32 v68, v20, v3
	v_mul_f32_e32 v69, v20, v4
	v_dual_mul_f32 v72, 0x3fb8aa3b, v40 :: v_dual_mul_f32 v73, 0x3fb8aa3b, v41
	ds_load_b128 v[2:5], v25 offset:64
	ds_load_b128 v[6:9], v25 offset:80
	v_dual_mul_f32 v82, 0x3fb8aa3b, v66 :: v_dual_mul_f32 v83, 0x3fb8aa3b, v67
	ds_load_b128 v[10:13], v25 offset:96
	ds_load_b128 v[14:17], v25 offset:112
	ds_load_b128 v[36:39], v25
	ds_load_b128 v[48:51], v25 offset:16
	ds_load_b128 v[52:55], v25 offset:32
	;; [unrolled: 1-line block ×3, first 2 shown]
	v_fma_f32 v25, 0x3fb8aa3b, v24, -v71
	v_rndne_f32_e32 v87, v71
	v_dual_mul_f32 v74, 0x3fb8aa3b, v44 :: v_dual_mul_f32 v75, 0x3fb8aa3b, v45
	v_mul_f32_e32 v86, 0x3fb8aa3b, v70
	v_fma_f32 v88, 0x3fb8aa3b, v40, -v72
	v_rndne_f32_e32 v89, v72
	v_fma_f32 v90, 0x3fb8aa3b, v41, -v73
	v_rndne_f32_e32 v91, v73
	v_fma_f32 v100, 0x3fb8aa3b, v66, -v82
	v_fmac_f32_e32 v25, 0x32a5705f, v24
	v_sub_f32_e32 v71, v71, v87
	v_fma_f32 v93, 0x3fb8aa3b, v45, -v75
	v_rndne_f32_e32 v103, v74
	v_rndne_f32_e32 v117, v86
	v_fmac_f32_e32 v88, 0x32a5705f, v40
	v_fmac_f32_e32 v90, 0x32a5705f, v41
	v_dual_fmac_f32 v100, 0x32a5705f, v66 :: v_dual_sub_f32 v73, v73, v91
	v_sub_f32_e32 v72, v72, v89
	v_dual_add_f32 v25, v71, v25 :: v_dual_mul_f32 v76, 0x3fb8aa3b, v60
	v_dual_mul_f32 v77, 0x3fb8aa3b, v61 :: v_dual_mul_f32 v78, 0x3fb8aa3b, v62
	v_dual_mul_f32 v79, 0x3fb8aa3b, v63 :: v_dual_mul_f32 v80, 0x3fb8aa3b, v64
	;; [unrolled: 1-line block ×3, first 2 shown]
	v_mul_f32_e32 v85, 0x3fb8aa3b, v69
	v_fma_f32 v92, 0x3fb8aa3b, v44, -v74
	v_fma_f32 v116, 0x3fb8aa3b, v70, -v86
	v_dual_fmac_f32 v93, 0x32a5705f, v45 :: v_dual_sub_f32 v74, v74, v103
	v_dual_sub_f32 v86, v86, v117 :: v_dual_add_f32 v71, v72, v88
	v_add_f32_e32 v72, v73, v90
	v_exp_f32_e32 v25, v25
	v_fma_f32 v94, 0x3fb8aa3b, v60, -v76
	v_fma_f32 v95, 0x3fb8aa3b, v61, -v77
	;; [unrolled: 1-line block ×9, first 2 shown]
	v_rndne_f32_e32 v105, v75
	v_rndne_f32_e32 v106, v76
	;; [unrolled: 1-line block ×11, first 2 shown]
	v_cvt_i32_f32_e32 v87, v87
	v_exp_f32_e32 v71, v71
	v_dual_fmac_f32 v92, 0x32a5705f, v44 :: v_dual_fmac_f32 v95, 0x32a5705f, v61
	v_dual_fmac_f32 v94, 0x32a5705f, v60 :: v_dual_fmac_f32 v97, 0x32a5705f, v63
	;; [unrolled: 1-line block ×4, first 2 shown]
	v_dual_fmac_f32 v102, 0x32a5705f, v68 :: v_dual_sub_f32 v75, v75, v105
	v_dual_fmac_f32 v104, 0x32a5705f, v69 :: v_dual_sub_f32 v77, v77, v107
	v_dual_sub_f32 v76, v76, v106 :: v_dual_sub_f32 v78, v78, v108
	v_dual_sub_f32 v79, v79, v109 :: v_dual_sub_f32 v80, v80, v110
	;; [unrolled: 1-line block ×3, first 2 shown]
	v_cvt_i32_f32_e32 v89, v89
	v_dual_sub_f32 v83, v83, v113 :: v_dual_sub_f32 v84, v84, v114
	v_dual_sub_f32 v85, v85, v115 :: v_dual_fmac_f32 v116, 0x32a5705f, v70
	v_ldexp_f32 v25, v25, v87
	v_cmp_ngt_f32_e32 vcc_lo, 0xc2ce8ed0, v24
	v_dual_add_f32 v73, v74, v92 :: v_dual_add_f32 v74, v75, v93
	v_dual_add_f32 v75, v76, v94 :: v_dual_add_f32 v76, v77, v95
	;; [unrolled: 1-line block ×6, first 2 shown]
	v_dual_add_f32 v85, v86, v116 :: v_dual_cndmask_b32 v25, 0, v25, vcc_lo
	v_ldexp_f32 v71, v71, v89
	v_cmp_ngt_f32_e32 vcc_lo, 0xc2ce8ed0, v40
	v_exp_f32_e32 v72, v72
	v_cvt_i32_f32_e32 v91, v91
	v_exp_f32_e32 v73, v73
	v_cvt_i32_f32_e32 v103, v103
	v_cndmask_b32_e32 v71, 0, v71, vcc_lo
	v_cmp_nlt_f32_e32 vcc_lo, 0x42b17218, v24
	v_exp_f32_e32 v74, v74
	v_ldexp_f32 v72, v72, v91
	v_cvt_i32_f32_e32 v105, v105
	v_ldexp_f32 v73, v73, v103
	v_cndmask_b32_e32 v24, 0x7f800000, v25, vcc_lo
	v_cmp_nlt_f32_e32 vcc_lo, 0x42b17218, v40
	v_exp_f32_e32 v75, v75
	v_cvt_i32_f32_e32 v106, v106
	v_ldexp_f32 v74, v74, v105
	v_exp_f32_e32 v76, v76
	v_cvt_i32_f32_e32 v107, v107
	v_exp_f32_e32 v77, v77
	v_cvt_i32_f32_e32 v108, v108
	v_ldexp_f32 v75, v75, v106
	v_exp_f32_e32 v78, v78
	v_cvt_i32_f32_e32 v109, v109
	v_ldexp_f32 v76, v76, v107
	v_exp_f32_e32 v79, v79
	v_ldexp_f32 v77, v77, v108
	v_cvt_i32_f32_e32 v110, v110
	v_exp_f32_e32 v80, v80
	v_ldexp_f32 v78, v78, v109
	v_cvt_i32_f32_e32 v111, v111
	;; [unrolled: 3-line block ×7, first 2 shown]
	s_add_nc_u64 s[2:3], s[18:19], s[4:5]
	v_ldexp_f32 v84, v84, v115
	s_mul_i32 s4, s21, s34
	s_ashr_i64 s[0:1], s[0:1], 29
	v_ldexp_f32 v85, v85, v117
	s_mov_b32 s5, 0
	v_add_nc_u64_e32 v[0:1], s[0:1], v[0:1]
	s_add_nc_u64 s[0:1], s[2:3], s[4:5]
	s_delay_alu instid0(SALU_CYCLE_1) | instskip(SKIP_4) | instid1(VALU_DEP_2)
	s_add_nc_u64 s[0:1], s[0:1], s[10:11]
	s_wait_loadcnt 0x0
	v_dual_mul_f32 v20, v20, v21 :: v_dual_cndmask_b32 v25, 0x7f800000, v71
	v_cmp_ngt_f32_e32 vcc_lo, 0xc2ce8ed0, v41
	s_wait_dscnt 0x3
	v_pk_mul_f32 v[36:37], v[20:21], v[36:37] op_sel_hi:[0,1]
	v_cndmask_b32_e32 v21, 0, v72, vcc_lo
	v_cmp_ngt_f32_e32 vcc_lo, 0xc2ce8ed0, v44
	s_delay_alu instid0(VALU_DEP_3)
	v_pk_fma_f32 v[36:37], v[46:47], v[24:25], v[36:37]
	v_cndmask_b32_e32 v40, 0, v73, vcc_lo
	v_cmp_nlt_f32_e32 vcc_lo, 0x42b17218, v41
	v_pk_mul_f32 v[38:39], v[20:21], v[38:39] op_sel_hi:[0,1]
	v_cndmask_b32_e32 v24, 0x7f800000, v21, vcc_lo
	v_cmp_nlt_f32_e32 vcc_lo, 0x42b17218, v44
	v_cndmask_b32_e32 v25, 0x7f800000, v40, vcc_lo
	v_cmp_ngt_f32_e32 vcc_lo, 0xc2ce8ed0, v45
	v_fma_f32 v40, v2, v36, 0
	s_delay_alu instid0(VALU_DEP_3) | instskip(SKIP_2) | instid1(VALU_DEP_4)
	v_pk_fma_f32 v[38:39], v[42:43], v[24:25], v[38:39]
	v_cndmask_b32_e32 v2, 0, v74, vcc_lo
	v_cmp_ngt_f32_e32 vcc_lo, 0xc2ce8ed0, v60
	v_dual_fmac_f32 v40, v3, v37 :: v_dual_cndmask_b32 v21, 0, v75
	v_cmp_nlt_f32_e32 vcc_lo, 0x42b17218, v45
	s_delay_alu instid0(VALU_DEP_2) | instskip(SKIP_1) | instid1(VALU_DEP_3)
	v_fmac_f32_e32 v40, v4, v38
	s_wait_dscnt 0x2
	v_pk_mul_f32 v[24:25], v[20:21], v[48:49] op_sel_hi:[0,1]
	v_cndmask_b32_e32 v2, 0x7f800000, v2, vcc_lo
	v_cmp_nlt_f32_e32 vcc_lo, 0x42b17218, v60
	v_dual_fmac_f32 v40, v5, v39 :: v_dual_cndmask_b32 v3, 0x7f800000, v21
	v_cmp_ngt_f32_e32 vcc_lo, 0xc2ce8ed0, v61
	s_delay_alu instid0(VALU_DEP_2) | instskip(SKIP_2) | instid1(VALU_DEP_3)
	v_pk_fma_f32 v[2:3], v[30:31], v[2:3], v[24:25]
	v_cndmask_b32_e32 v4, 0, v76, vcc_lo
	v_cmp_ngt_f32_e32 vcc_lo, 0xc2ce8ed0, v62
	v_dual_fmac_f32 v40, v6, v2 :: v_dual_cndmask_b32 v21, 0, v77
	v_cmp_nlt_f32_e32 vcc_lo, 0x42b17218, v61
	s_delay_alu instid0(VALU_DEP_2) | instskip(SKIP_4) | instid1(VALU_DEP_2)
	v_pk_mul_f32 v[24:25], v[20:21], v[50:51] op_sel_hi:[0,1]
	v_cndmask_b32_e32 v4, 0x7f800000, v4, vcc_lo
	v_cmp_nlt_f32_e32 vcc_lo, 0x42b17218, v62
	v_cndmask_b32_e32 v5, 0x7f800000, v21, vcc_lo
	v_cmp_ngt_f32_e32 vcc_lo, 0xc2ce8ed0, v63
	v_pk_fma_f32 v[4:5], v[28:29], v[4:5], v[24:25]
	v_cndmask_b32_e32 v6, 0, v78, vcc_lo
	v_cmp_ngt_f32_e32 vcc_lo, 0xc2ce8ed0, v64
	v_cndmask_b32_e32 v21, 0, v79, vcc_lo
	v_cmp_nlt_f32_e32 vcc_lo, 0x42b17218, v63
	s_wait_dscnt 0x1
	s_delay_alu instid0(VALU_DEP_2) | instskip(SKIP_4) | instid1(VALU_DEP_2)
	v_pk_mul_f32 v[24:25], v[20:21], v[52:53] op_sel_hi:[0,1]
	v_cndmask_b32_e32 v6, 0x7f800000, v6, vcc_lo
	v_cmp_nlt_f32_e32 vcc_lo, 0x42b17218, v64
	v_dual_fmac_f32 v40, v7, v3 :: v_dual_cndmask_b32 v7, 0x7f800000, v21
	v_cmp_ngt_f32_e32 vcc_lo, 0xc2ce8ed0, v65
	v_fmac_f32_e32 v40, v8, v4
	s_delay_alu instid0(VALU_DEP_3)
	v_pk_fma_f32 v[6:7], v[26:27], v[6:7], v[24:25]
	v_cndmask_b32_e32 v8, 0, v80, vcc_lo
	v_cmp_ngt_f32_e32 vcc_lo, 0xc2ce8ed0, v66
	v_cndmask_b32_e32 v21, 0, v81, vcc_lo
	v_cmp_nlt_f32_e32 vcc_lo, 0x42b17218, v65
	v_fmac_f32_e32 v40, v9, v5
	s_delay_alu instid0(VALU_DEP_3) | instskip(SKIP_2) | instid1(VALU_DEP_4)
	v_pk_mul_f32 v[24:25], v[20:21], v[54:55] op_sel_hi:[0,1]
	v_cndmask_b32_e32 v8, 0x7f800000, v8, vcc_lo
	v_cmp_nlt_f32_e32 vcc_lo, 0x42b17218, v66
	v_dual_fmac_f32 v40, v10, v6 :: v_dual_cndmask_b32 v9, 0x7f800000, v21
	v_cmp_ngt_f32_e32 vcc_lo, 0xc2ce8ed0, v67
	s_delay_alu instid0(VALU_DEP_2)
	v_pk_fma_f32 v[8:9], v[32:33], v[8:9], v[24:25]
	v_cndmask_b32_e32 v10, 0, v82, vcc_lo
	v_cmp_ngt_f32_e32 vcc_lo, 0xc2ce8ed0, v68
	v_cndmask_b32_e32 v21, 0, v83, vcc_lo
	v_cmp_nlt_f32_e32 vcc_lo, 0x42b17218, v67
	s_wait_dscnt 0x0
	s_delay_alu instid0(VALU_DEP_2) | instskip(SKIP_4) | instid1(VALU_DEP_2)
	v_pk_mul_f32 v[24:25], v[20:21], v[56:57] op_sel_hi:[0,1]
	v_cndmask_b32_e32 v10, 0x7f800000, v10, vcc_lo
	v_cmp_nlt_f32_e32 vcc_lo, 0x42b17218, v68
	v_dual_fmac_f32 v40, v11, v7 :: v_dual_cndmask_b32 v11, 0x7f800000, v21
	v_cmp_ngt_f32_e32 vcc_lo, 0xc2ce8ed0, v69
	v_fmac_f32_e32 v40, v12, v8
	s_delay_alu instid0(VALU_DEP_3)
	v_pk_fma_f32 v[10:11], v[22:23], v[10:11], v[24:25]
	v_cndmask_b32_e32 v12, 0, v84, vcc_lo
	v_cmp_ngt_f32_e32 vcc_lo, 0xc2ce8ed0, v70
	v_cndmask_b32_e32 v21, 0, v85, vcc_lo
	v_cmp_nlt_f32_e32 vcc_lo, 0x42b17218, v69
	v_fmac_f32_e32 v40, v13, v9
	v_cndmask_b32_e32 v12, 0x7f800000, v12, vcc_lo
	v_cmp_nlt_f32_e32 vcc_lo, 0x42b17218, v70
	s_delay_alu instid0(VALU_DEP_3) | instskip(SKIP_1) | instid1(VALU_DEP_2)
	v_dual_fmac_f32 v40, v14, v10 :: v_dual_cndmask_b32 v13, 0x7f800000, v21
	v_pk_mul_f32 v[20:21], v[20:21], v[58:59] op_sel_hi:[0,1]
	v_fmac_f32_e32 v40, v15, v11
	v_lshl_add_u64 v[14:15], v[34:35], 2, s[0:1]
	s_delay_alu instid0(VALU_DEP_3) | instskip(NEXT) | instid1(VALU_DEP_1)
	v_pk_fma_f32 v[12:13], v[18:19], v[12:13], v[20:21]
	v_fmac_f32_e32 v40, v16, v12
	s_delay_alu instid0(VALU_DEP_1)
	v_fmac_f32_e32 v40, v17, v13
	global_store_b32 v[0:1], v40, off
	s_wait_storecnt 0x0
	s_barrier_signal -1
	s_barrier_wait -1
	s_clause 0x3
	global_store_b128 v[14:15], v[36:39], off
	global_store_b128 v[14:15], v[2:5], off offset:16
	global_store_b128 v[14:15], v[6:9], off offset:32
	;; [unrolled: 1-line block ×3, first 2 shown]
	s_sendmsg sendmsg(MSG_DEALLOC_VGPRS)
	s_endpgm
	.section	.rodata,"a",@progbits
	.p2align	6, 0x0
	.amdhsa_kernel _Z12ssm_scan_f32ILm128ELm16ELm3EEvPKfS1_S1_S1_S1_S1_PKiPfiiiiiiiiiiilll
		.amdhsa_group_segment_fixed_size 128
		.amdhsa_private_segment_fixed_size 0
		.amdhsa_kernarg_size 136
		.amdhsa_user_sgpr_count 2
		.amdhsa_user_sgpr_dispatch_ptr 0
		.amdhsa_user_sgpr_queue_ptr 0
		.amdhsa_user_sgpr_kernarg_segment_ptr 1
		.amdhsa_user_sgpr_dispatch_id 0
		.amdhsa_user_sgpr_kernarg_preload_length 0
		.amdhsa_user_sgpr_kernarg_preload_offset 0
		.amdhsa_user_sgpr_private_segment_size 0
		.amdhsa_wavefront_size32 1
		.amdhsa_uses_dynamic_stack 0
		.amdhsa_enable_private_segment 0
		.amdhsa_system_sgpr_workgroup_id_x 1
		.amdhsa_system_sgpr_workgroup_id_y 1
		.amdhsa_system_sgpr_workgroup_id_z 0
		.amdhsa_system_sgpr_workgroup_info 0
		.amdhsa_system_vgpr_workitem_id 0
		.amdhsa_next_free_vgpr 124
		.amdhsa_next_free_sgpr 36
		.amdhsa_named_barrier_count 0
		.amdhsa_reserve_vcc 1
		.amdhsa_float_round_mode_32 0
		.amdhsa_float_round_mode_16_64 0
		.amdhsa_float_denorm_mode_32 3
		.amdhsa_float_denorm_mode_16_64 3
		.amdhsa_fp16_overflow 0
		.amdhsa_memory_ordered 1
		.amdhsa_forward_progress 1
		.amdhsa_inst_pref_size 77
		.amdhsa_round_robin_scheduling 0
		.amdhsa_exception_fp_ieee_invalid_op 0
		.amdhsa_exception_fp_denorm_src 0
		.amdhsa_exception_fp_ieee_div_zero 0
		.amdhsa_exception_fp_ieee_overflow 0
		.amdhsa_exception_fp_ieee_underflow 0
		.amdhsa_exception_fp_ieee_inexact 0
		.amdhsa_exception_int_div_zero 0
	.end_amdhsa_kernel
	.section	.text._Z12ssm_scan_f32ILm128ELm16ELm3EEvPKfS1_S1_S1_S1_S1_PKiPfiiiiiiiiiiilll,"axG",@progbits,_Z12ssm_scan_f32ILm128ELm16ELm3EEvPKfS1_S1_S1_S1_S1_PKiPfiiiiiiiiiiilll,comdat
.Lfunc_end4:
	.size	_Z12ssm_scan_f32ILm128ELm16ELm3EEvPKfS1_S1_S1_S1_S1_PKiPfiiiiiiiiiiilll, .Lfunc_end4-_Z12ssm_scan_f32ILm128ELm16ELm3EEvPKfS1_S1_S1_S1_S1_PKiPfiiiiiiiiiiilll
                                        ; -- End function
	.set _Z12ssm_scan_f32ILm128ELm16ELm3EEvPKfS1_S1_S1_S1_S1_PKiPfiiiiiiiiiiilll.num_vgpr, 124
	.set _Z12ssm_scan_f32ILm128ELm16ELm3EEvPKfS1_S1_S1_S1_S1_PKiPfiiiiiiiiiiilll.num_agpr, 0
	.set _Z12ssm_scan_f32ILm128ELm16ELm3EEvPKfS1_S1_S1_S1_S1_PKiPfiiiiiiiiiiilll.numbered_sgpr, 36
	.set _Z12ssm_scan_f32ILm128ELm16ELm3EEvPKfS1_S1_S1_S1_S1_PKiPfiiiiiiiiiiilll.num_named_barrier, 0
	.set _Z12ssm_scan_f32ILm128ELm16ELm3EEvPKfS1_S1_S1_S1_S1_PKiPfiiiiiiiiiiilll.private_seg_size, 0
	.set _Z12ssm_scan_f32ILm128ELm16ELm3EEvPKfS1_S1_S1_S1_S1_PKiPfiiiiiiiiiiilll.uses_vcc, 1
	.set _Z12ssm_scan_f32ILm128ELm16ELm3EEvPKfS1_S1_S1_S1_S1_PKiPfiiiiiiiiiiilll.uses_flat_scratch, 0
	.set _Z12ssm_scan_f32ILm128ELm16ELm3EEvPKfS1_S1_S1_S1_S1_PKiPfiiiiiiiiiiilll.has_dyn_sized_stack, 0
	.set _Z12ssm_scan_f32ILm128ELm16ELm3EEvPKfS1_S1_S1_S1_S1_PKiPfiiiiiiiiiiilll.has_recursion, 0
	.set _Z12ssm_scan_f32ILm128ELm16ELm3EEvPKfS1_S1_S1_S1_S1_PKiPfiiiiiiiiiiilll.has_indirect_call, 0
	.section	.AMDGPU.csdata,"",@progbits
; Kernel info:
; codeLenInByte = 9844
; TotalNumSgprs: 38
; NumVgprs: 124
; ScratchSize: 0
; MemoryBound: 0
; FloatMode: 240
; IeeeMode: 1
; LDSByteSize: 128 bytes/workgroup (compile time only)
; SGPRBlocks: 0
; VGPRBlocks: 7
; NumSGPRsForWavesPerEU: 38
; NumVGPRsForWavesPerEU: 124
; NamedBarCnt: 0
; Occupancy: 8
; WaveLimiterHint : 1
; COMPUTE_PGM_RSRC2:SCRATCH_EN: 0
; COMPUTE_PGM_RSRC2:USER_SGPR: 2
; COMPUTE_PGM_RSRC2:TRAP_HANDLER: 0
; COMPUTE_PGM_RSRC2:TGID_X_EN: 1
; COMPUTE_PGM_RSRC2:TGID_Y_EN: 1
; COMPUTE_PGM_RSRC2:TGID_Z_EN: 0
; COMPUTE_PGM_RSRC2:TIDIG_COMP_CNT: 0
	.section	.text._Z12ssm_scan_f32ILm128ELm16ELm4EEvPKfS1_S1_S1_S1_S1_PKiPfiiiiiiiiiiilll,"axG",@progbits,_Z12ssm_scan_f32ILm128ELm16ELm4EEvPKfS1_S1_S1_S1_S1_PKiPfiiiiiiiiiiilll,comdat
	.protected	_Z12ssm_scan_f32ILm128ELm16ELm4EEvPKfS1_S1_S1_S1_S1_PKiPfiiiiiiiiiiilll ; -- Begin function _Z12ssm_scan_f32ILm128ELm16ELm4EEvPKfS1_S1_S1_S1_S1_PKiPfiiiiiiiiiiilll
	.globl	_Z12ssm_scan_f32ILm128ELm16ELm4EEvPKfS1_S1_S1_S1_S1_PKiPfiiiiiiiiiiilll
	.p2align	8
	.type	_Z12ssm_scan_f32ILm128ELm16ELm4EEvPKfS1_S1_S1_S1_S1_PKiPfiiiiiiiiiiilll,@function
_Z12ssm_scan_f32ILm128ELm16ELm4EEvPKfS1_S1_S1_S1_S1_PKiPfiiiiiiiiiiilll: ; @_Z12ssm_scan_f32ILm128ELm16ELm4EEvPKfS1_S1_S1_S1_S1_PKiPfiiiiiiiiiiilll
; %bb.0:
	s_clause 0x1
	s_load_b512 s[4:19], s[0:1], 0x0
	s_load_b256 s[20:27], s[0:1], 0x40
	s_bfe_u32 s3, ttmp6, 0x4000c
	s_bfe_u32 s28, ttmp6, 0x40010
	s_add_co_i32 s3, s3, 1
	s_add_co_i32 s28, s28, 1
	s_and_b32 s2, ttmp6, 15
	s_bfe_u32 s29, ttmp6, 0x40004
	s_mul_i32 s3, ttmp9, s3
	s_mul_i32 s28, ttmp7, s28
	s_getreg_b32 s30, hwreg(HW_REG_IB_STS2, 6, 4)
	s_add_co_i32 s2, s2, s3
	s_add_co_i32 s29, s29, s28
	s_cmp_eq_u32 s30, 0
	s_mov_b32 s35, 0
	s_cselect_b32 s34, ttmp9, s2
	s_cselect_b32 s2, ttmp7, s29
	v_mov_b32_e32 v35, 0
	v_cmp_gt_u32_e32 vcc_lo, 16, v0
	s_wait_kmcnt 0x0
	s_load_b32 s30, s[16:17], s34 offset:0x0 scale_offset
	s_ashr_i32 s3, s26, 2
	s_ashr_i32 s29, s26, 31
	v_mul_lo_u32 v34, s3, v0
	s_mov_b32 s3, s35
	s_mov_b32 s28, s26
	s_wait_xcnt 0x0
	s_lshl_b64 s[16:17], s[2:3], 7
	s_ashr_i32 s26, s20, 2
	s_mul_u64 s[28:29], s[16:17], s[28:29]
	s_delay_alu instid0(SALU_CYCLE_1)
	s_add_nc_u64 s[10:11], s[10:11], s[28:29]
	s_delay_alu instid0(VALU_DEP_1) | instid1(SALU_CYCLE_1)
	v_lshl_add_u64 v[36:37], v[34:35], 2, s[10:11]
	v_mul_lo_u32 v34, s26, v0
	s_ashr_i32 s11, s20, 31
	s_mov_b32 s10, s20
	s_delay_alu instid0(SALU_CYCLE_1) | instskip(SKIP_4) | instid1(SALU_CYCLE_1)
	s_mul_u64 s[10:11], s[16:17], s[10:11]
	s_wait_kmcnt 0x0
	s_mul_i32 s28, s30, s21
	s_mov_b32 s17, s35
	s_ashr_i32 s29, s28, 31
	s_add_nc_u64 s[4:5], s[4:5], s[28:29]
	s_load_b96 s[28:30], s[0:1], 0x60
	s_add_nc_u64 s[4:5], s[4:5], s[10:11]
	s_delay_alu instid0(SALU_CYCLE_1)
	v_lshl_add_u64 v[38:39], v[34:35], 2, s[4:5]
	s_clause 0x3
	global_load_b128 v[2:5], v[36:37], off offset:48
	global_load_b128 v[6:9], v[36:37], off offset:32
	;; [unrolled: 1-line block ×3, first 2 shown]
	global_load_b128 v[14:17], v[36:37], off
	s_clause 0x3
	global_load_b128 v[18:21], v[38:39], off offset:48
	global_load_b128 v[22:25], v[38:39], off offset:32
	global_load_b128 v[26:29], v[38:39], off offset:16
	global_load_b128 v[30:33], v[38:39], off
	s_wait_xcnt 0x4
	v_dual_mov_b32 v37, v35 :: v_dual_lshlrev_b32 v36, 2, v0
	s_mov_b32 s5, s35
	s_delay_alu instid0(VALU_DEP_1)
	v_add_nc_u32_e32 v52, 64, v36
	s_wait_kmcnt 0x0
	s_mul_i32 s4, s28, s34
	s_mul_i32 s16, s30, s34
	s_add_nc_u64 s[4:5], s[12:13], s[4:5]
	s_add_nc_u64 s[12:13], s[14:15], s[16:17]
	v_add_nc_u64_e32 v[40:41], s[4:5], v[36:37]
	s_wait_xcnt 0x0
	v_add_nc_u64_e32 v[38:39], s[12:13], v[36:37]
	s_and_saveexec_b32 s4, vcc_lo
	s_cbranch_execz .LBB5_2
; %bb.1:
	global_load_b32 v1, v[40:41], off
	global_load_b32 v42, v[38:39], off
	s_wait_loadcnt 0x1
	ds_store_b32 v36, v1
	s_wait_loadcnt 0x0
	ds_store_b32 v52, v42
.LBB5_2:
	s_or_b32 exec_lo, exec_lo, s4
	s_mul_i32 s4, s25, s34
	s_mov_b32 s5, s35
	s_lshl_b64 s[12:13], s[2:3], 9
	s_add_nc_u64 s[2:3], s[8:9], s[4:5]
	s_wait_loadcnt_dscnt 0x0
	s_add_nc_u64 s[4:5], s[2:3], s[12:13]
	s_barrier_signal -1
	s_barrier_wait -1
	global_load_b32 v1, v0, s[4:5] scale_offset
	s_mov_b32 s3, exec_lo
	s_wait_loadcnt 0x0
	v_cmpx_ge_f32_e32 0x41a00000, v1
	s_cbranch_execz .LBB5_4
; %bb.3:
	v_mul_f32_e32 v42, 0x3fb8aa3b, v1
	v_cmp_ngt_f32_e64 s2, 0xc2ce8ed0, v1
	s_delay_alu instid0(VALU_DEP_2) | instskip(SKIP_1) | instid1(VALU_DEP_2)
	v_rndne_f32_e32 v43, v42
	v_fma_f32 v44, 0x3fb8aa3b, v1, -v42
	v_sub_f32_e32 v42, v42, v43
	s_delay_alu instid0(VALU_DEP_2) | instskip(SKIP_1) | instid1(VALU_DEP_2)
	v_fmamk_f32 v44, v1, 0x32a5705f, v44
	v_cvt_i32_f32_e32 v43, v43
	v_add_f32_e32 v42, v42, v44
	s_delay_alu instid0(VALU_DEP_1) | instskip(SKIP_1) | instid1(TRANS32_DEP_1)
	v_exp_f32_e32 v42, v42
	v_nop
	v_ldexp_f32 v42, v42, v43
	s_delay_alu instid0(VALU_DEP_1) | instskip(SKIP_1) | instid1(VALU_DEP_1)
	v_cndmask_b32_e64 v42, 0, v42, s2
	v_cmp_nlt_f32_e64 s2, 0x42b17218, v1
	v_cndmask_b32_e64 v53, 0x7f800000, v42, s2
	s_delay_alu instid0(VALU_DEP_1) | instskip(NEXT) | instid1(VALU_DEP_1)
	v_add_f32_e32 v1, 1.0, v53
	v_cvt_f64_f32_e32 v[42:43], v1
	s_delay_alu instid0(VALU_DEP_1) | instskip(SKIP_1) | instid1(VALU_DEP_1)
	v_frexp_exp_i32_f64_e32 v42, v[42:43]
	v_frexp_mant_f32_e32 v43, v1
	v_cmp_gt_f32_e64 s2, 0x3f2aaaab, v43
	s_delay_alu instid0(VALU_DEP_1) | instskip(SKIP_2) | instid1(VALU_DEP_1)
	v_subrev_co_ci_u32_e64 v48, null, 0, v42, s2
	v_add_f32_e32 v42, -1.0, v1
	s_mov_b32 s2, 0x3e9b6dac
	v_dual_sub_f32 v44, v42, v1 :: v_dual_sub_nc_u32 v43, 0, v48
	s_delay_alu instid0(VALU_DEP_1) | instskip(NEXT) | instid1(VALU_DEP_1)
	v_ldexp_f32 v1, v1, v43
	v_dual_add_f32 v45, 1.0, v1 :: v_dual_add_f32 v47, -1.0, v1
	s_delay_alu instid0(VALU_DEP_3) | instskip(NEXT) | instid1(VALU_DEP_1)
	v_dual_sub_f32 v42, v53, v42 :: v_dual_add_f32 v44, 1.0, v44
	v_dual_add_f32 v42, v42, v44 :: v_dual_add_f32 v44, -1.0, v45
	s_delay_alu instid0(VALU_DEP_1) | instskip(NEXT) | instid1(VALU_DEP_2)
	v_ldexp_f32 v42, v42, v43
	v_sub_f32_e32 v43, v1, v44
	s_delay_alu instid0(VALU_DEP_1) | instskip(NEXT) | instid1(VALU_DEP_1)
	v_add_f32_e32 v46, v42, v43
	v_dual_add_f32 v44, 1.0, v47 :: v_dual_add_f32 v49, v45, v46
	s_delay_alu instid0(VALU_DEP_1) | instskip(NEXT) | instid1(VALU_DEP_2)
	v_sub_f32_e32 v1, v1, v44
	v_rcp_f32_e32 v50, v49
	s_delay_alu instid0(VALU_DEP_1) | instskip(NEXT) | instid1(VALU_DEP_1)
	v_add_f32_e32 v1, v42, v1
	v_add_f32_e32 v43, v47, v1
	s_delay_alu instid0(TRANS32_DEP_1) | instid1(VALU_DEP_1)
	v_mul_f32_e32 v51, v43, v50
	s_delay_alu instid0(VALU_DEP_1) | instskip(SKIP_1) | instid1(VALU_DEP_1)
	v_mul_f32_e32 v44, v49, v51
	v_dual_sub_f32 v42, v45, v49 :: v_dual_sub_f32 v55, v47, v43
	v_dual_add_f32 v54, v46, v42 :: v_dual_fma_f32 v46, v51, v49, -v44
	s_delay_alu instid0(VALU_DEP_1) | instskip(NEXT) | instid1(VALU_DEP_1)
	v_dual_add_f32 v1, v1, v55 :: v_dual_fmac_f32 v46, v51, v54
	v_add_f32_e32 v42, v44, v46
	s_delay_alu instid0(VALU_DEP_1) | instskip(NEXT) | instid1(VALU_DEP_1)
	v_dual_sub_f32 v45, v43, v42 :: v_dual_mov_b32 v47, v42
	v_pk_add_f32 v[42:43], v[42:43], v[44:45] neg_lo:[0,1] neg_hi:[0,1]
	s_delay_alu instid0(VALU_DEP_1) | instskip(NEXT) | instid1(VALU_DEP_1)
	v_pk_add_f32 v[42:43], v[42:43], v[46:47] neg_lo:[0,1] neg_hi:[0,1]
	v_add_f32_e32 v1, v1, v43
	s_delay_alu instid0(VALU_DEP_1) | instskip(NEXT) | instid1(VALU_DEP_1)
	v_add_f32_e32 v1, v42, v1
	v_add_f32_e32 v43, v45, v1
	s_delay_alu instid0(VALU_DEP_1) | instskip(NEXT) | instid1(VALU_DEP_1)
	v_mul_f32_e32 v55, v50, v43
	v_mul_f32_e32 v46, v49, v55
	s_delay_alu instid0(VALU_DEP_1) | instskip(NEXT) | instid1(VALU_DEP_1)
	v_fma_f32 v44, v55, v49, -v46
	v_dual_fmac_f32 v44, v55, v54 :: v_dual_sub_f32 v49, v45, v43
	s_delay_alu instid0(VALU_DEP_1) | instskip(NEXT) | instid1(VALU_DEP_1)
	v_dual_add_f32 v42, v46, v44 :: v_dual_add_f32 v1, v1, v49
	v_dual_sub_f32 v47, v43, v42 :: v_dual_mov_b32 v45, v42
	s_delay_alu instid0(VALU_DEP_1) | instskip(SKIP_1) | instid1(VALU_DEP_2)
	v_pk_add_f32 v[42:43], v[42:43], v[46:47] neg_lo:[0,1] neg_hi:[0,1]
	v_add_f32_e32 v46, v51, v55
	v_pk_add_f32 v[42:43], v[42:43], v[44:45] neg_lo:[0,1] neg_hi:[0,1]
	v_cvt_f32_i32_e32 v44, v48
	s_delay_alu instid0(VALU_DEP_2) | instskip(NEXT) | instid1(VALU_DEP_1)
	v_add_f32_e32 v1, v1, v43
	v_add_f32_e32 v1, v42, v1
	s_delay_alu instid0(VALU_DEP_1) | instskip(NEXT) | instid1(VALU_DEP_1)
	v_dual_sub_f32 v42, v46, v51 :: v_dual_add_f32 v1, v47, v1
	v_dual_sub_f32 v42, v55, v42 :: v_dual_mul_f32 v1, v50, v1
	s_delay_alu instid0(VALU_DEP_1) | instskip(NEXT) | instid1(VALU_DEP_1)
	v_dual_add_f32 v1, v42, v1 :: v_dual_mov_b32 v42, 0x3f317218
	v_add_f32_e32 v47, v46, v1
	s_delay_alu instid0(VALU_DEP_1) | instskip(NEXT) | instid1(VALU_DEP_1)
	v_mul_f32_e32 v43, v47, v47
	v_fmaak_f32 v49, s2, v43, 0x3ecc95a3
	v_mul_f32_e32 v45, v47, v43
	v_cmp_neq_f32_e64 s2, 0x7f800000, v53
	s_delay_alu instid0(VALU_DEP_3) | instskip(NEXT) | instid1(VALU_DEP_1)
	v_fmaak_f32 v43, v43, v49, 0x3f2aaada
	v_pk_mul_f32 v[42:43], v[44:45], v[42:43]
	s_delay_alu instid0(VALU_DEP_1) | instskip(NEXT) | instid1(VALU_DEP_1)
	v_fma_f32 v48, 0x3f317218, v44, -v42
	v_fmamk_f32 v44, v44, 0xb102e308, v48
	v_ldexp_f32 v45, v47, 1
	v_sub_f32_e32 v48, v47, v46
	s_delay_alu instid0(VALU_DEP_2) | instskip(NEXT) | instid1(VALU_DEP_2)
	v_pk_add_f32 v[46:47], v[42:43], v[44:45]
	v_dual_sub_f32 v1, v1, v48 :: v_dual_mov_b32 v48, v42
	s_delay_alu instid0(VALU_DEP_2) | instskip(NEXT) | instid1(VALU_DEP_2)
	v_sub_f32_e32 v45, v47, v45
	v_ldexp_f32 v1, v1, 1
	s_delay_alu instid0(VALU_DEP_2) | instskip(SKIP_1) | instid1(VALU_DEP_2)
	v_sub_f32_e32 v45, v43, v45
	v_pk_add_f32 v[42:43], v[46:47], v[42:43] neg_lo:[0,1] neg_hi:[0,1]
	v_dual_add_f32 v49, v1, v45 :: v_dual_mov_b32 v45, v46
	s_delay_alu instid0(VALU_DEP_1) | instskip(NEXT) | instid1(VALU_DEP_1)
	v_pk_add_f32 v[50:51], v[46:47], v[48:49]
	v_dual_mov_b32 v58, v47 :: v_dual_mov_b32 v43, v51
	s_delay_alu instid0(VALU_DEP_1) | instskip(NEXT) | instid1(VALU_DEP_1)
	v_pk_add_f32 v[54:55], v[44:45], v[42:43]
	v_dual_mov_b32 v54, v51 :: v_dual_mov_b32 v48, v55
	v_pk_add_f32 v[42:43], v[44:45], v[42:43] neg_lo:[0,1] neg_hi:[0,1]
	v_mov_b32_e32 v43, v55
	s_delay_alu instid0(VALU_DEP_3) | instskip(SKIP_1) | instid1(VALU_DEP_2)
	v_pk_add_f32 v[56:57], v[48:49], v[46:47] neg_lo:[0,1] neg_hi:[0,1]
	v_dual_mov_b32 v47, v46 :: v_dual_mov_b32 v46, v49
	v_dual_mov_b32 v59, v56 :: v_dual_mov_b32 v1, v56
	s_delay_alu instid0(VALU_DEP_1) | instskip(NEXT) | instid1(VALU_DEP_2)
	v_pk_add_f32 v[56:57], v[54:55], v[58:59] neg_lo:[0,1] neg_hi:[0,1]
	v_pk_add_f32 v[44:45], v[50:51], v[0:1] neg_lo:[0,1] neg_hi:[0,1]
	v_mov_b32_e32 v44, v42
	s_delay_alu instid0(VALU_DEP_3) | instskip(NEXT) | instid1(VALU_DEP_1)
	v_pk_add_f32 v[46:47], v[46:47], v[56:57] neg_lo:[0,1] neg_hi:[0,1]
	v_pk_add_f32 v[44:45], v[44:45], v[46:47]
	s_delay_alu instid0(VALU_DEP_1) | instskip(NEXT) | instid1(VALU_DEP_1)
	v_mov_b32_e32 v50, v45
	v_pk_add_f32 v[50:51], v[44:45], v[50:51]
	s_delay_alu instid0(VALU_DEP_1) | instskip(NEXT) | instid1(VALU_DEP_1)
	v_pk_add_f32 v[48:49], v[48:49], v[50:51]
	v_dual_mov_b32 v47, v50 :: v_dual_mov_b32 v45, v48
	s_delay_alu instid0(VALU_DEP_1) | instskip(NEXT) | instid1(VALU_DEP_1)
	v_pk_add_f32 v[54:55], v[44:45], v[42:43] neg_lo:[0,1] neg_hi:[0,1]
	v_sub_f32_e32 v1, v44, v54
	s_delay_alu instid0(VALU_DEP_2) | instskip(NEXT) | instid1(VALU_DEP_2)
	v_pk_add_f32 v[44:45], v[46:47], v[54:55] neg_lo:[0,1] neg_hi:[0,1]
	v_sub_f32_e32 v1, v42, v1
	s_delay_alu instid0(VALU_DEP_1) | instskip(NEXT) | instid1(VALU_DEP_1)
	v_add_f32_e32 v1, v44, v1
	v_add_f32_e32 v1, v1, v45
	s_delay_alu instid0(VALU_DEP_1) | instskip(NEXT) | instid1(VALU_DEP_1)
	v_add_f32_e32 v1, v48, v1
	v_cndmask_b32_e64 v1, 0x7f800000, v1, s2
	v_cmp_gt_f32_e64 s2, 0x33800000, v53
	s_delay_alu instid0(VALU_DEP_1)
	v_cndmask_b32_e64 v1, v1, v53, s2
.LBB5_4:
	s_or_b32 exec_lo, exec_lo, s3
	s_mul_i32 s2, s23, s34
	s_mov_b32 s3, 0
	v_add_nc_u64_e32 v[44:45], s[4:5], v[36:37]
	s_add_nc_u64 s[2:3], s[6:7], s[2:3]
	v_dual_mov_b32 v37, 0 :: v_dual_mul_f32 v43, v1, v14
	s_add_nc_u64 s[14:15], s[2:3], s[12:13]
	v_dual_mul_f32 v83, v1, v17 :: v_dual_mul_f32 v84, v1, v10
	global_load_b32 v42, v0, s[14:15] scale_offset
	v_dual_mul_f32 v95, v1, v5 :: v_dual_mul_f32 v50, 0x3fb8aa3b, v43
	v_dual_mul_f32 v51, v1, v15 :: v_dual_mul_f32 v53, v1, v16
	;; [unrolled: 1-line block ×6, first 2 shown]
	v_fma_f32 v81, 0x3fb8aa3b, v43, -v50
	v_rndne_f32_e32 v82, v50
	v_dual_mul_f32 v66, 0x3fb8aa3b, v51 :: v_dual_mul_f32 v67, 0x3fb8aa3b, v53
	v_dual_mul_f32 v70, 0x3fb8aa3b, v85 :: v_dual_mul_f32 v71, 0x3fb8aa3b, v86
	;; [unrolled: 1-line block ×4, first 2 shown]
	v_fma_f32 v102, 0x3fb8aa3b, v84, -v69
	v_rndne_f32_e32 v103, v69
	v_dual_fmac_f32 v81, 0x32a5705f, v43 :: v_dual_sub_f32 v50, v50, v82
	v_dual_mul_f32 v91, v1, v9 :: v_dual_mul_f32 v92, v1, v2
	v_fma_f32 v96, 0x3fb8aa3b, v51, -v66
	v_rndne_f32_e32 v97, v66
	v_fma_f32 v100, 0x3fb8aa3b, v83, -v68
	v_rndne_f32_e32 v105, v70
	v_rndne_f32_e32 v107, v71
	v_fma_f32 v108, 0x3fb8aa3b, v87, -v72
	v_rndne_f32_e32 v109, v72
	v_dual_add_f32 v50, v50, v81 :: v_dual_sub_f32 v69, v69, v103
	v_rndne_f32_e32 v81, v75
	v_dual_fmac_f32 v102, 0x32a5705f, v84 :: v_dual_mul_f32 v93, v1, v3
	v_mul_f32_e32 v94, v1, v4
	v_dual_mul_f32 v76, 0x3fb8aa3b, v91 :: v_dual_mul_f32 v77, 0x3fb8aa3b, v92
	v_fma_f32 v98, 0x3fb8aa3b, v53, -v67
	v_rndne_f32_e32 v99, v67
	v_rndne_f32_e32 v101, v68
	v_fma_f32 v104, 0x3fb8aa3b, v85, -v70
	v_fma_f32 v106, 0x3fb8aa3b, v86, -v71
	;; [unrolled: 1-line block ×3, first 2 shown]
	v_rndne_f32_e32 v111, v73
	v_fma_f32 v112, 0x3fb8aa3b, v89, -v74
	v_fmac_f32_e32 v96, 0x32a5705f, v51
	v_dual_sub_f32 v66, v66, v97 :: v_dual_sub_f32 v67, v67, v99
	v_rndne_f32_e32 v113, v74
	v_fmac_f32_e32 v100, 0x32a5705f, v83
	v_dual_add_f32 v102, v69, v102 :: v_dual_sub_f32 v69, v70, v105
	v_sub_f32_e32 v70, v71, v107
	v_dual_fmac_f32 v108, 0x32a5705f, v87 :: v_dual_sub_f32 v71, v72, v109
	v_dual_mul_f32 v78, 0x3fb8aa3b, v93 :: v_dual_mul_f32 v79, 0x3fb8aa3b, v94
	v_dual_add_f32 v66, v66, v96 :: v_dual_sub_f32 v68, v68, v101
	v_fmac_f32_e32 v98, 0x32a5705f, v53
	v_rndne_f32_e32 v115, v77
	v_fmac_f32_e32 v106, 0x32a5705f, v86
	v_dual_add_f32 v108, v71, v108 :: v_dual_sub_f32 v72, v74, v113
	v_dual_fmac_f32 v110, 0x32a5705f, v88 :: v_dual_sub_f32 v71, v73, v111
	v_fmac_f32_e32 v112, 0x32a5705f, v89
	v_fmac_f32_e32 v104, 0x32a5705f, v85
	v_fma_f32 v114, 0x3fb8aa3b, v90, -v75
	v_add_f32_e32 v100, v68, v100
	v_fma_f32 v68, 0x3fb8aa3b, v92, -v77
	v_sub_f32_e32 v73, v75, v81
	v_add_f32_e32 v74, v71, v110
	v_rndne_f32_e32 v110, v79
	v_add_f32_e32 v75, v72, v112
	v_add_f32_e32 v104, v69, v104
	v_dual_sub_f32 v77, v77, v115 :: v_dual_add_f32 v106, v70, v106
	v_fma_f32 v70, 0x3fb8aa3b, v94, -v79
	v_sub_f32_e32 v79, v79, v110
	v_exp_f32_e32 v66, v66
	v_dual_mul_f32 v80, 0x3fb8aa3b, v95 :: v_dual_add_f32 v67, v67, v98
	s_delay_alu instid0(VALU_DEP_3)
	v_fmac_f32_e32 v70, 0x32a5705f, v94
	v_fmac_f32_e32 v68, 0x32a5705f, v92
	v_fma_f32 v96, 0x3fb8aa3b, v91, -v76
	v_rndne_f32_e32 v98, v76
	v_fma_f32 v69, 0x3fb8aa3b, v93, -v78
	v_add_f32_e32 v117, v79, v70
	v_fmac_f32_e32 v114, 0x32a5705f, v90
	v_rndne_f32_e32 v116, v78
	v_exp_f32_e32 v50, v50
	s_load_b128 s[4:7], s[0:1], 0x70
	v_cvt_i32_f32_e32 v72, v82
	s_delay_alu instid0(VALU_DEP_2)
	v_dual_add_f32 v112, v73, v114 :: v_dual_sub_f32 v78, v78, v116
	v_cvt_i32_f32_e32 v73, v97
	v_dual_fmac_f32 v69, 0x32a5705f, v93 :: v_dual_fmac_f32 v96, 0x32a5705f, v91
	s_wait_xcnt 0x0
	v_cmp_ngt_f32_e64 s0, 0xc2ce8ed0, v51
	v_exp_f32_e32 v100, v100
	v_ldexp_f32 v119, v66, v73
	v_sub_f32_e32 v76, v76, v98
	v_fma_f32 v71, 0x3fb8aa3b, v95, -v80
	v_rndne_f32_e32 v114, v80
	v_cvt_i32_f32_e32 v82, v99
	v_add_f32_e32 v99, v78, v69
	v_ldexp_f32 v50, v50, v72
	v_add_f32_e32 v96, v76, v96
	v_cvt_i32_f32_e32 v76, v101
	v_exp_f32_e32 v67, v67
	v_fmac_f32_e32 v71, 0x32a5705f, v95
	v_exp_f32_e32 v99, v99
	v_exp_f32_e32 v96, v96
	v_ldexp_f32 v100, v100, v76
	v_sub_f32_e32 v80, v80, v114
	v_cvt_i32_f32_e32 v98, v98
	v_ldexp_f32 v82, v67, v82
	v_cvt_i32_f32_e32 v101, v111
	v_exp_f32_e32 v111, v117
	v_add_f32_e32 v118, v80, v71
	v_cvt_i32_f32_e32 v80, v109
	v_cvt_i32_f32_e32 v109, v116
	;; [unrolled: 1-line block ×3, first 2 shown]
	v_ldexp_f32 v96, v96, v98
	v_exp_f32_e32 v102, v102
	v_add_f32_e32 v97, v77, v68
	v_ldexp_f32 v98, v99, v109
	v_cndmask_b32_e64 v109, 0, v119, s0
	v_cmp_ngt_f32_e64 s0, 0xc2ce8ed0, v43
	v_ldexp_f32 v99, v111, v110
	v_cvt_i32_f32_e32 v77, v103
	v_exp_f32_e32 v104, v104
	v_cvt_i32_f32_e32 v78, v105
	v_cndmask_b32_e64 v110, 0, v50, s0
	v_cmp_ngt_f32_e64 s0, 0xc2ce8ed0, v83
	v_ldexp_f32 v102, v102, v77
	v_exp_f32_e32 v105, v106
	v_cvt_i32_f32_e32 v79, v107
	v_ldexp_f32 v104, v104, v78
	v_cndmask_b32_e64 v100, 0, v100, s0
	v_cmp_ngt_f32_e64 s0, 0xc2ce8ed0, v53
	v_exp_f32_e32 v106, v108
	v_exp_f32_e32 v75, v75
	v_ldexp_f32 v105, v105, v79
	v_cvt_i32_f32_e32 v103, v113
	v_cndmask_b32_e64 v82, 0, v82, s0
	v_cmp_ngt_f32_e64 s0, 0xc2ce8ed0, v84
	v_exp_f32_e32 v74, v74
	v_ldexp_f32 v106, v106, v80
	v_ldexp_f32 v103, v75, v103
	ds_load_b128 v[46:49], v37
	ds_load_b128 v[54:57], v37 offset:16
	v_cndmask_b32_e64 v102, 0, v102, s0
	v_cmp_ngt_f32_e64 s0, 0xc2ce8ed0, v85
	ds_load_b128 v[58:61], v37 offset:32
	ds_load_b128 v[62:65], v37 offset:48
	v_ldexp_f32 v101, v74, v101
	ds_load_b128 v[66:69], v37 offset:64
	ds_load_b128 v[70:73], v37 offset:80
	v_exp_f32_e32 v107, v112
	v_cndmask_b32_e64 v104, 0, v104, s0
	v_cmp_ngt_f32_e64 s0, 0xc2ce8ed0, v86
	v_cvt_i32_f32_e32 v81, v81
	v_exp_f32_e32 v97, v97
	v_cvt_i32_f32_e32 v108, v115
	v_exp_f32_e32 v112, v118
	v_cndmask_b32_e64 v105, 0, v105, s0
	v_cmp_ngt_f32_e64 s0, 0xc2ce8ed0, v87
	v_ldexp_f32 v107, v107, v81
	ds_load_b128 v[74:77], v37 offset:96
	ds_load_b128 v[78:81], v37 offset:112
	v_ldexp_f32 v97, v97, v108
	v_cvt_i32_f32_e32 v113, v114
	v_cndmask_b32_e64 v106, 0, v106, s0
	v_cmp_ngt_f32_e64 s0, 0xc2ce8ed0, v89
	s_ashr_i32 s8, s27, 2
	s_ashr_i32 s2, s29, 2
	v_ldexp_f32 v108, v112, v113
	s_ashr_i32 s9, s8, 31
	v_cndmask_b32_e64 v103, 0, v103, s0
	v_cmp_ngt_f32_e64 s0, 0xc2ce8ed0, v88
	s_ashr_i32 s3, s2, 31
	v_cndmask_b32_e64 v101, 0, v101, s0
	v_cmp_nlt_f32_e64 s0, 0x42b17218, v43
	s_wait_loadcnt 0x0
	v_mul_f32_e32 v50, v1, v42
	s_delay_alu instid0(VALU_DEP_2) | instskip(SKIP_1) | instid1(VALU_DEP_1)
	v_cndmask_b32_e64 v42, 0x7f800000, v110, s0
	v_cmp_nlt_f32_e64 s0, 0x42b17218, v51
	v_cndmask_b32_e64 v43, 0x7f800000, v109, s0
	v_cmp_ngt_f32_e64 s0, 0xc2ce8ed0, v91
	s_delay_alu instid0(VALU_DEP_1) | instskip(SKIP_3) | instid1(VALU_DEP_2)
	v_cndmask_b32_e64 v1, 0, v96, s0
	v_cmp_nlt_f32_e64 s0, 0x42b17218, v53
	s_wait_dscnt 0x7
	v_pk_mul_f32 v[46:47], v[50:51], v[46:47] op_sel_hi:[0,1]
	v_cndmask_b32_e64 v82, 0x7f800000, v82, s0
	v_cmp_nlt_f32_e64 s0, 0x42b17218, v83
	s_delay_alu instid0(VALU_DEP_3) | instskip(SKIP_1) | instid1(VALU_DEP_3)
	v_pk_fma_f32 v[30:31], v[30:31], v[42:43], v[46:47]
	v_pk_mul_f32 v[42:43], v[50:51], v[48:49] op_sel_hi:[0,1]
	v_cndmask_b32_e64 v83, 0x7f800000, v100, s0
	v_cmp_nlt_f32_e64 s0, 0x42b17218, v84
	s_wait_dscnt 0x3
	v_fma_f32 v51, v66, v30, 0
	s_delay_alu instid0(VALU_DEP_3) | instskip(NEXT) | instid1(VALU_DEP_3)
	v_pk_fma_f32 v[42:43], v[32:33], v[82:83], v[42:43]
	v_cndmask_b32_e64 v46, 0x7f800000, v102, s0
	v_cmp_nlt_f32_e64 s0, 0x42b17218, v85
	s_delay_alu instid0(VALU_DEP_4) | instskip(SKIP_1) | instid1(VALU_DEP_3)
	v_pk_mul_f32 v[48:49], v[50:51], v[54:55] op_sel_hi:[0,1]
	v_fmac_f32_e32 v51, v67, v31
	v_cndmask_b32_e64 v47, 0x7f800000, v104, s0
	v_cmp_ngt_f32_e64 s0, 0xc2ce8ed0, v90
	s_delay_alu instid0(VALU_DEP_3) | instskip(NEXT) | instid1(VALU_DEP_3)
	v_fmac_f32_e32 v51, v68, v42
	v_pk_fma_f32 v[32:33], v[26:27], v[46:47], v[48:49]
	s_delay_alu instid0(VALU_DEP_3) | instskip(SKIP_1) | instid1(VALU_DEP_4)
	v_cndmask_b32_e64 v53, 0, v107, s0
	v_cmp_nlt_f32_e64 s0, 0x42b17218, v86
	v_pk_mul_f32 v[26:27], v[50:51], v[56:57] op_sel_hi:[0,1]
	s_wait_dscnt 0x2
	v_pk_mul_f32 v[46:47], v[70:71], v[32:33]
	s_delay_alu instid0(VALU_DEP_3) | instskip(SKIP_1) | instid1(VALU_DEP_1)
	v_cndmask_b32_e64 v54, 0x7f800000, v105, s0
	v_cmp_nlt_f32_e64 s0, 0x42b17218, v87
	v_cndmask_b32_e64 v55, 0x7f800000, v106, s0
	v_cmp_ngt_f32_e64 s0, 0xc2ce8ed0, v92
	v_fmac_f32_e32 v51, v69, v43
	s_delay_alu instid0(VALU_DEP_3) | instskip(NEXT) | instid1(VALU_DEP_3)
	v_pk_fma_f32 v[26:27], v[28:29], v[54:55], v[26:27]
	v_cndmask_b32_e64 v56, 0, v97, s0
	v_cmp_nlt_f32_e64 s0, 0x42b17218, v88
	s_delay_alu instid0(VALU_DEP_4) | instskip(NEXT) | instid1(VALU_DEP_4)
	v_pk_mul_f32 v[28:29], v[50:51], v[58:59] op_sel_hi:[0,1]
	v_pk_mul_f32 v[54:55], v[72:73], v[26:27]
	v_add_f32_e32 v46, v51, v46
	s_delay_alu instid0(VALU_DEP_4) | instskip(SKIP_1) | instid1(VALU_DEP_1)
	v_cndmask_b32_e64 v48, 0x7f800000, v101, s0
	v_cmp_nlt_f32_e64 s0, 0x42b17218, v89
	v_cndmask_b32_e64 v49, 0x7f800000, v103, s0
	v_cmp_ngt_f32_e64 s0, 0xc2ce8ed0, v93
	v_add_f32_e32 v47, v46, v47
	s_delay_alu instid0(VALU_DEP_3) | instskip(NEXT) | instid1(VALU_DEP_3)
	v_pk_fma_f32 v[22:23], v[22:23], v[48:49], v[28:29]
	v_cndmask_b32_e64 v51, 0, v98, s0
	v_cmp_nlt_f32_e64 s0, 0x42b17218, v90
	s_wait_dscnt 0x1
	s_delay_alu instid0(VALU_DEP_3) | instskip(NEXT) | instid1(VALU_DEP_3)
	v_pk_mul_f32 v[48:49], v[74:75], v[22:23]
	v_pk_mul_f32 v[28:29], v[50:51], v[60:61] op_sel_hi:[0,1]
	s_delay_alu instid0(VALU_DEP_3) | instskip(SKIP_2) | instid1(VALU_DEP_1)
	v_cndmask_b32_e64 v46, 0x7f800000, v53, s0
	v_add_f32_e32 v53, v47, v54
	v_cmp_nlt_f32_e64 s0, 0x42b17218, v91
	v_cndmask_b32_e64 v47, 0x7f800000, v1, s0
	s_delay_alu instid0(VALU_DEP_3) | instskip(SKIP_1) | instid1(VALU_DEP_3)
	v_add_f32_e32 v1, v53, v55
	v_cmp_ngt_f32_e64 s0, 0xc2ce8ed0, v94
	v_pk_fma_f32 v[24:25], v[24:25], v[46:47], v[28:29]
	s_delay_alu instid0(VALU_DEP_2) | instskip(SKIP_2) | instid1(VALU_DEP_4)
	v_dual_add_f32 v1, v1, v48 :: v_dual_cndmask_b32 v53, 0, v99, s0
	v_cmp_nlt_f32_e64 s0, 0x42b17218, v92
	v_pk_mul_f32 v[28:29], v[50:51], v[62:63] op_sel_hi:[0,1]
	v_pk_mul_f32 v[46:47], v[76:77], v[24:25]
	s_delay_alu instid0(VALU_DEP_4) | instskip(NEXT) | instid1(VALU_DEP_4)
	v_add_f32_e32 v1, v1, v49
	v_cndmask_b32_e64 v54, 0x7f800000, v56, s0
	v_cmp_nlt_f32_e64 s0, 0x42b17218, v93
	s_delay_alu instid0(VALU_DEP_3) | instskip(NEXT) | instid1(VALU_DEP_2)
	v_add_f32_e32 v1, v1, v46
	v_cndmask_b32_e64 v55, 0x7f800000, v51, s0
	v_cmp_ngt_f32_e64 s0, 0xc2ce8ed0, v95
	s_delay_alu instid0(VALU_DEP_3) | instskip(NEXT) | instid1(VALU_DEP_3)
	v_add_f32_e32 v1, v1, v47
	v_pk_fma_f32 v[18:19], v[18:19], v[54:55], v[28:29]
	s_delay_alu instid0(VALU_DEP_3) | instskip(SKIP_4) | instid1(VALU_DEP_3)
	v_cndmask_b32_e64 v49, 0, v108, s0
	v_cmp_nlt_f32_e64 s0, 0x42b17218, v94
	v_pk_mul_f32 v[28:29], v[50:51], v[64:65] op_sel_hi:[0,1]
	s_wait_dscnt 0x0
	v_pk_mul_f32 v[50:51], v[78:79], v[18:19]
	v_cndmask_b32_e64 v48, 0x7f800000, v53, s0
	v_cmp_nlt_f32_e64 s0, 0x42b17218, v95
	s_delay_alu instid0(VALU_DEP_3) | instskip(NEXT) | instid1(VALU_DEP_2)
	v_add_f32_e32 v1, v1, v50
	v_cndmask_b32_e64 v49, 0x7f800000, v49, s0
	s_wait_kmcnt 0x0
	s_mul_u64 s[0:1], s[34:35], s[6:7]
	s_delay_alu instid0(VALU_DEP_2) | instskip(SKIP_3) | instid1(SALU_CYCLE_1)
	v_add_f32_e32 v1, v1, v51
	s_lshl_b64 s[0:1], s[0:1], 4
	v_pk_fma_f32 v[46:47], v[20:21], v[48:49], v[28:29]
	s_add_nc_u64 s[0:1], s[18:19], s[0:1]
	s_add_nc_u64 s[0:1], s[0:1], s[12:13]
	s_delay_alu instid0(VALU_DEP_1) | instskip(NEXT) | instid1(VALU_DEP_1)
	v_pk_mul_f32 v[20:21], v[80:81], v[46:47]
	v_add_f32_e32 v1, v1, v20
	s_delay_alu instid0(VALU_DEP_1)
	v_add_f32_e32 v1, v1, v21
	global_store_b32 v0, v1, s[0:1] scale_offset
	s_wait_storecnt 0x0
	s_barrier_signal -1
	s_barrier_wait -1
	s_wait_xcnt 0x0
	s_and_saveexec_b32 s12, vcc_lo
	s_cbranch_execz .LBB5_6
; %bb.5:
	v_lshl_add_u64 v[0:1], s[8:9], 2, v[40:41]
	v_lshl_add_u64 v[20:21], s[2:3], 2, v[38:39]
	global_load_b32 v28, v[0:1], off
	global_load_b32 v29, v[20:21], off
	s_wait_loadcnt 0x1
	ds_store_b32 v36, v28
	s_wait_loadcnt 0x0
	ds_store_b32 v52, v29
.LBB5_6:
	s_or_b32 exec_lo, exec_lo, s12
	s_ashr_i32 s12, s24, 2
	s_wait_dscnt 0x0
	s_ashr_i32 s13, s12, 31
	s_barrier_signal -1
	v_lshl_add_u64 v[48:49], s[12:13], 2, v[44:45]
	s_barrier_wait -1
	v_add_nc_u64_e32 v[20:21], s[14:15], v[36:37]
	v_add_nc_u64_e32 v[0:1], s[0:1], v[36:37]
	global_load_b32 v28, v[48:49], off
	s_mov_b32 s1, exec_lo
	s_wait_loadcnt 0x0
	v_cmpx_ge_f32_e32 0x41a00000, v28
	s_cbranch_execz .LBB5_8
; %bb.7:
	v_mul_f32_e32 v29, 0x3fb8aa3b, v28
	v_cmp_ngt_f32_e64 s0, 0xc2ce8ed0, v28
	s_delay_alu instid0(VALU_DEP_2) | instskip(SKIP_1) | instid1(VALU_DEP_1)
	v_rndne_f32_e32 v37, v29
	v_fma_f32 v44, 0x3fb8aa3b, v28, -v29
	v_dual_sub_f32 v29, v29, v37 :: v_dual_fmamk_f32 v44, v28, 0x32a5705f, v44
	v_cvt_i32_f32_e32 v37, v37
	s_delay_alu instid0(VALU_DEP_2) | instskip(NEXT) | instid1(VALU_DEP_1)
	v_add_f32_e32 v29, v29, v44
	v_exp_f32_e32 v29, v29
	v_nop
	s_delay_alu instid0(TRANS32_DEP_1) | instskip(NEXT) | instid1(VALU_DEP_1)
	v_ldexp_f32 v29, v29, v37
	v_cndmask_b32_e64 v29, 0, v29, s0
	v_cmp_nlt_f32_e64 s0, 0x42b17218, v28
	s_delay_alu instid0(VALU_DEP_1) | instskip(NEXT) | instid1(VALU_DEP_1)
	v_cndmask_b32_e64 v53, 0x7f800000, v29, s0
	v_add_f32_e32 v37, 1.0, v53
	s_delay_alu instid0(VALU_DEP_1) | instskip(NEXT) | instid1(VALU_DEP_1)
	v_cvt_f64_f32_e32 v[28:29], v37
	v_frexp_exp_i32_f64_e32 v28, v[28:29]
	v_frexp_mant_f32_e32 v29, v37
	s_delay_alu instid0(VALU_DEP_1) | instskip(NEXT) | instid1(VALU_DEP_1)
	v_cmp_gt_f32_e64 s0, 0x3f2aaaab, v29
	v_subrev_co_ci_u32_e64 v54, null, 0, v28, s0
	v_add_f32_e32 v28, -1.0, v37
	s_mov_b32 s0, 0x3e9b6dac
	s_delay_alu instid0(VALU_DEP_1) | instskip(SKIP_1) | instid1(VALU_DEP_2)
	v_dual_sub_f32 v44, v28, v37 :: v_dual_sub_nc_u32 v29, 0, v54
	v_sub_f32_e32 v28, v53, v28
	v_ldexp_f32 v37, v37, v29
	s_delay_alu instid0(VALU_DEP_1) | instskip(NEXT) | instid1(VALU_DEP_1)
	v_dual_add_f32 v44, 1.0, v44 :: v_dual_add_f32 v45, 1.0, v37
	v_dual_add_f32 v28, v28, v44 :: v_dual_add_f32 v44, -1.0, v45
	v_add_f32_e32 v51, -1.0, v37
	s_delay_alu instid0(VALU_DEP_2) | instskip(NEXT) | instid1(VALU_DEP_2)
	v_ldexp_f32 v28, v28, v29
	v_dual_sub_f32 v29, v37, v44 :: v_dual_add_f32 v44, 1.0, v51
	s_delay_alu instid0(VALU_DEP_1) | instskip(NEXT) | instid1(VALU_DEP_1)
	v_dual_add_f32 v50, v28, v29 :: v_dual_sub_f32 v29, v37, v44
	v_dual_add_f32 v37, v45, v50 :: v_dual_add_f32 v55, v28, v29
	s_delay_alu instid0(VALU_DEP_1) | instskip(NEXT) | instid1(VALU_DEP_1)
	v_rcp_f32_e32 v56, v37
	v_dual_add_f32 v29, v51, v55 :: v_dual_sub_f32 v28, v45, v37
	s_delay_alu instid0(TRANS32_DEP_1) | instid1(VALU_DEP_1)
	v_dual_sub_f32 v59, v51, v29 :: v_dual_mul_f32 v57, v29, v56
	s_delay_alu instid0(VALU_DEP_1) | instskip(NEXT) | instid1(VALU_DEP_1)
	v_dual_mul_f32 v44, v37, v57 :: v_dual_add_f32 v58, v50, v28
	v_fma_f32 v50, v57, v37, -v44
	s_delay_alu instid0(VALU_DEP_1) | instskip(NEXT) | instid1(VALU_DEP_1)
	v_fmac_f32_e32 v50, v57, v58
	v_add_f32_e32 v28, v44, v50
	s_delay_alu instid0(VALU_DEP_1) | instskip(NEXT) | instid1(VALU_DEP_1)
	v_dual_sub_f32 v45, v29, v28 :: v_dual_mov_b32 v51, v28
	v_pk_add_f32 v[28:29], v[28:29], v[44:45] neg_lo:[0,1] neg_hi:[0,1]
	s_delay_alu instid0(VALU_DEP_1) | instskip(SKIP_1) | instid1(VALU_DEP_1)
	v_pk_add_f32 v[28:29], v[28:29], v[50:51] neg_lo:[0,1] neg_hi:[0,1]
	v_add_f32_e32 v44, v55, v59
	v_add_f32_e32 v29, v44, v29
	s_delay_alu instid0(VALU_DEP_1) | instskip(NEXT) | instid1(VALU_DEP_1)
	v_add_f32_e32 v55, v28, v29
	v_add_f32_e32 v29, v45, v55
	s_delay_alu instid0(VALU_DEP_1) | instskip(NEXT) | instid1(VALU_DEP_1)
	v_mul_f32_e32 v59, v56, v29
	v_mul_f32_e32 v50, v37, v59
	s_delay_alu instid0(VALU_DEP_1) | instskip(NEXT) | instid1(VALU_DEP_1)
	v_fma_f32 v44, v59, v37, -v50
	v_fmac_f32_e32 v44, v59, v58
	s_delay_alu instid0(VALU_DEP_1) | instskip(NEXT) | instid1(VALU_DEP_1)
	v_dual_add_f32 v28, v50, v44 :: v_dual_sub_f32 v37, v45, v29
	v_dual_mov_b32 v45, v28 :: v_dual_sub_f32 v51, v29, v28
	s_delay_alu instid0(VALU_DEP_2) | instskip(NEXT) | instid1(VALU_DEP_2)
	v_add_f32_e32 v37, v55, v37
	v_pk_add_f32 v[28:29], v[28:29], v[50:51] neg_lo:[0,1] neg_hi:[0,1]
	s_delay_alu instid0(VALU_DEP_1) | instskip(SKIP_1) | instid1(VALU_DEP_2)
	v_pk_add_f32 v[28:29], v[28:29], v[44:45] neg_lo:[0,1] neg_hi:[0,1]
	v_cvt_f32_i32_e32 v44, v54
	v_add_f32_e32 v29, v37, v29
	s_delay_alu instid0(VALU_DEP_1) | instskip(NEXT) | instid1(VALU_DEP_1)
	v_dual_add_f32 v37, v57, v59 :: v_dual_add_f32 v28, v28, v29
	v_dual_sub_f32 v29, v37, v57 :: v_dual_add_f32 v28, v51, v28
	s_delay_alu instid0(VALU_DEP_1) | instskip(NEXT) | instid1(VALU_DEP_1)
	v_dual_sub_f32 v29, v59, v29 :: v_dual_mul_f32 v28, v56, v28
	v_dual_add_f32 v55, v29, v28 :: v_dual_mov_b32 v28, 0x3f317218
	s_delay_alu instid0(VALU_DEP_1) | instskip(NEXT) | instid1(VALU_DEP_1)
	v_add_f32_e32 v50, v37, v55
	v_dual_mul_f32 v29, v50, v50 :: v_dual_sub_f32 v37, v50, v37
	s_delay_alu instid0(VALU_DEP_1) | instskip(SKIP_1) | instid1(VALU_DEP_3)
	v_fmaak_f32 v51, s0, v29, 0x3ecc95a3
	v_mul_f32_e32 v45, v50, v29
	v_sub_f32_e32 v37, v55, v37
	v_cmp_neq_f32_e64 s0, 0x7f800000, v53
	s_delay_alu instid0(VALU_DEP_4) | instskip(NEXT) | instid1(VALU_DEP_3)
	v_fmaak_f32 v29, v29, v51, 0x3f2aaada
	v_ldexp_f32 v37, v37, 1
	s_delay_alu instid0(VALU_DEP_2) | instskip(SKIP_1) | instid1(VALU_DEP_2)
	v_pk_mul_f32 v[28:29], v[44:45], v[28:29]
	v_ldexp_f32 v45, v50, 1
	v_fma_f32 v51, 0x3f317218, v44, -v28
	v_mov_b32_e32 v54, v28
	s_delay_alu instid0(VALU_DEP_2) | instskip(NEXT) | instid1(VALU_DEP_1)
	v_fmamk_f32 v44, v44, 0xb102e308, v51
	v_pk_add_f32 v[50:51], v[28:29], v[44:45]
	s_delay_alu instid0(VALU_DEP_1) | instskip(NEXT) | instid1(VALU_DEP_1)
	v_dual_sub_f32 v45, v51, v45 :: v_dual_mov_b32 v62, v51
	v_sub_f32_e32 v45, v29, v45
	s_delay_alu instid0(VALU_DEP_3) | instskip(NEXT) | instid1(VALU_DEP_2)
	v_pk_add_f32 v[28:29], v[50:51], v[28:29] neg_lo:[0,1] neg_hi:[0,1]
	v_dual_add_f32 v55, v37, v45 :: v_dual_mov_b32 v45, v50
	s_delay_alu instid0(VALU_DEP_1) | instskip(NEXT) | instid1(VALU_DEP_1)
	v_pk_add_f32 v[56:57], v[50:51], v[54:55]
	v_mov_b32_e32 v29, v57
	s_delay_alu instid0(VALU_DEP_1) | instskip(SKIP_2) | instid1(VALU_DEP_3)
	v_pk_add_f32 v[58:59], v[44:45], v[28:29]
	v_mov_b32_e32 v58, v57
	v_pk_add_f32 v[28:29], v[44:45], v[28:29] neg_lo:[0,1] neg_hi:[0,1]
	v_dual_mov_b32 v54, v59 :: v_dual_mov_b32 v29, v59
	s_delay_alu instid0(VALU_DEP_1) | instskip(SKIP_1) | instid1(VALU_DEP_2)
	v_pk_add_f32 v[60:61], v[54:55], v[50:51] neg_lo:[0,1] neg_hi:[0,1]
	v_dual_mov_b32 v51, v50 :: v_dual_mov_b32 v50, v55
	v_dual_mov_b32 v63, v60 :: v_dual_mov_b32 v37, v60
	s_delay_alu instid0(VALU_DEP_1) | instskip(NEXT) | instid1(VALU_DEP_2)
	v_pk_add_f32 v[60:61], v[58:59], v[62:63] neg_lo:[0,1] neg_hi:[0,1]
	v_pk_add_f32 v[44:45], v[56:57], v[36:37] neg_lo:[0,1] neg_hi:[0,1]
	v_mov_b32_e32 v44, v28
	s_delay_alu instid0(VALU_DEP_3) | instskip(NEXT) | instid1(VALU_DEP_1)
	v_pk_add_f32 v[50:51], v[50:51], v[60:61] neg_lo:[0,1] neg_hi:[0,1]
	v_pk_add_f32 v[44:45], v[44:45], v[50:51]
	s_delay_alu instid0(VALU_DEP_1) | instskip(NEXT) | instid1(VALU_DEP_1)
	v_mov_b32_e32 v56, v45
	v_pk_add_f32 v[56:57], v[44:45], v[56:57]
	s_delay_alu instid0(VALU_DEP_1) | instskip(NEXT) | instid1(VALU_DEP_1)
	v_pk_add_f32 v[54:55], v[54:55], v[56:57]
	v_dual_mov_b32 v51, v56 :: v_dual_mov_b32 v45, v54
	s_delay_alu instid0(VALU_DEP_1) | instskip(NEXT) | instid1(VALU_DEP_1)
	v_pk_add_f32 v[58:59], v[44:45], v[28:29] neg_lo:[0,1] neg_hi:[0,1]
	v_sub_f32_e32 v29, v44, v58
	s_delay_alu instid0(VALU_DEP_2) | instskip(NEXT) | instid1(VALU_DEP_2)
	v_pk_add_f32 v[44:45], v[50:51], v[58:59] neg_lo:[0,1] neg_hi:[0,1]
	v_sub_f32_e32 v28, v28, v29
	s_delay_alu instid0(VALU_DEP_1) | instskip(NEXT) | instid1(VALU_DEP_1)
	v_add_f32_e32 v28, v44, v28
	v_add_f32_e32 v28, v28, v45
	s_delay_alu instid0(VALU_DEP_1) | instskip(NEXT) | instid1(VALU_DEP_1)
	v_add_f32_e32 v28, v54, v28
	v_cndmask_b32_e64 v28, 0x7f800000, v28, s0
	v_cmp_gt_f32_e64 s0, 0x33800000, v53
	s_delay_alu instid0(VALU_DEP_1)
	v_cndmask_b32_e64 v28, v28, v53, s0
.LBB5_8:
	s_or_b32 exec_lo, exec_lo, s1
	s_ashr_i32 s22, s22, 2
	s_delay_alu instid0(VALU_DEP_1)
	v_dual_mul_f32 v37, v28, v15 :: v_dual_mul_f32 v44, v28, v16
	s_ashr_i32 s23, s22, 31
	v_dual_mul_f32 v45, v28, v17 :: v_dual_mul_f32 v53, v28, v10
	v_lshl_add_u64 v[50:51], s[22:23], 2, v[20:21]
	v_dual_mul_f32 v21, v28, v14 :: v_dual_mov_b32 v29, 0
	v_dual_mul_f32 v87, v28, v11 :: v_dual_mul_f32 v88, v28, v12
	global_load_b32 v20, v[50:51], off
	v_dual_mul_f32 v89, v28, v13 :: v_dual_mul_f32 v90, v28, v6
	v_dual_mul_f32 v91, v28, v7 :: v_dual_mul_f32 v92, v28, v8
	;; [unrolled: 1-line block ×8, first 2 shown]
	v_rndne_f32_e32 v113, v86
	s_delay_alu instid0(VALU_DEP_4)
	v_fma_f32 v118, 0x3fb8aa3b, v45, -v100
	v_rndne_f32_e32 v119, v100
	v_fma_f32 v122, 0x3fb8aa3b, v87, -v102
	v_rndne_f32_e32 v123, v102
	;; [unrolled: 2-line block ×5, first 2 shown]
	v_dual_mul_f32 v93, v28, v9 :: v_dual_mul_f32 v94, v28, v2
	ds_load_b128 v[54:57], v29
	ds_load_b128 v[58:61], v29 offset:16
	ds_load_b128 v[62:65], v29 offset:64
	;; [unrolled: 1-line block ×7, first 2 shown]
	v_fma_f32 v29, 0x3fb8aa3b, v21, -v86
	v_fma_f32 v114, 0x3fb8aa3b, v37, -v98
	v_rndne_f32_e32 v115, v98
	v_fma_f32 v120, 0x3fb8aa3b, v53, -v101
	v_rndne_f32_e32 v121, v101
	v_dual_sub_f32 v86, v86, v113 :: v_dual_sub_f32 v100, v100, v119
	v_dual_fmac_f32 v122, 0x32a5705f, v87 :: v_dual_sub_f32 v103, v103, v125
	v_dual_sub_f32 v102, v102, v123 :: v_dual_sub_f32 v105, v105, v129
	v_dual_fmac_f32 v124, 0x32a5705f, v88 :: v_dual_sub_f32 v107, v107, v133
	v_fmac_f32_e32 v118, 0x32a5705f, v45
	v_fmac_f32_e32 v132, 0x32a5705f, v92
	;; [unrolled: 1-line block ×3, first 2 shown]
	v_dual_mul_f32 v108, 0x3fb8aa3b, v93 :: v_dual_mul_f32 v109, 0x3fb8aa3b, v94
	v_fma_f32 v116, 0x3fb8aa3b, v44, -v99
	v_rndne_f32_e32 v117, v99
	v_fma_f32 v126, 0x3fb8aa3b, v89, -v104
	v_rndne_f32_e32 v127, v104
	v_dual_fmac_f32 v29, 0x32a5705f, v21 :: v_dual_sub_f32 v98, v98, v115
	v_dual_sub_f32 v101, v101, v121 :: v_dual_add_f32 v103, v103, v124
	v_dual_add_f32 v100, v100, v118 :: v_dual_add_f32 v107, v107, v132
	v_dual_fmac_f32 v120, 0x32a5705f, v53 :: v_dual_add_f32 v105, v105, v128
	v_dual_fmac_f32 v114, 0x32a5705f, v37 :: v_dual_mul_f32 v95, v28, v3
	v_mul_f32_e32 v96, v28, v4
	v_rndne_f32_e32 v131, v106
	v_dual_add_f32 v29, v86, v29 :: v_dual_fmac_f32 v116, 0x32a5705f, v44
	v_rndne_f32_e32 v118, v109
	v_dual_add_f32 v101, v101, v120 :: v_dual_sub_f32 v99, v99, v117
	v_add_f32_e32 v98, v98, v114
	v_dual_add_f32 v102, v102, v122 :: v_dual_sub_f32 v104, v104, v127
	v_fmac_f32_e32 v126, 0x32a5705f, v89
	v_dual_mul_f32 v110, 0x3fb8aa3b, v95 :: v_dual_mul_f32 v111, 0x3fb8aa3b, v96
	v_fma_f32 v130, 0x3fb8aa3b, v91, -v106
	v_dual_mul_f32 v112, 0x3fb8aa3b, v97 :: v_dual_add_f32 v99, v99, v116
	v_fma_f32 v116, 0x3fb8aa3b, v94, -v109
	v_dual_sub_f32 v109, v109, v118 :: v_dual_sub_f32 v106, v106, v131
	v_add_f32_e32 v104, v104, v126
	v_exp_f32_e32 v98, v98
	v_rndne_f32_e32 v126, v111
	v_fmac_f32_e32 v130, 0x32a5705f, v91
	v_cvt_i32_f32_e32 v115, v115
	v_exp_f32_e32 v100, v100
	v_exp_f32_e32 v104, v104
	v_fma_f32 v86, 0x3fb8aa3b, v93, -v108
	v_rndne_f32_e32 v114, v108
	v_fma_f32 v120, 0x3fb8aa3b, v95, -v110
	v_rndne_f32_e32 v122, v110
	v_fma_f32 v124, 0x3fb8aa3b, v96, -v111
	v_fma_f32 v128, 0x3fb8aa3b, v97, -v112
	v_sub_f32_e32 v111, v111, v126
	v_add_f32_e32 v106, v106, v130
	v_rndne_f32_e32 v130, v112
	v_cvt_i32_f32_e32 v119, v119
	v_cvt_i32_f32_e32 v127, v127
	v_ldexp_f32 v98, v98, v115
	v_cmp_ngt_f32_e64 s0, 0xc2ce8ed0, v37
	v_exp_f32_e32 v102, v102
	v_fmac_f32_e32 v120, 0x32a5705f, v95
	v_fmac_f32_e32 v124, 0x32a5705f, v96
	v_sub_f32_e32 v108, v108, v114
	v_fmac_f32_e32 v128, 0x32a5705f, v97
	v_sub_f32_e32 v112, v112, v130
	;; [unrolled: 2-line block ×3, first 2 shown]
	v_fmac_f32_e32 v86, 0x32a5705f, v93
	v_cvt_i32_f32_e32 v123, v123
	v_ldexp_f32 v100, v100, v119
	v_ldexp_f32 v104, v104, v127
	v_cndmask_b32_e64 v98, 0, v98, s0
	v_cmp_ngt_f32_e64 s0, 0xc2ce8ed0, v45
	v_exp_f32_e32 v29, v29
	v_cvt_i32_f32_e32 v113, v113
	v_add_f32_e32 v86, v108, v86
	v_ldexp_f32 v102, v102, v123
	v_cndmask_b32_e64 v100, 0, v100, s0
	v_cmp_ngt_f32_e64 s0, 0xc2ce8ed0, v87
	v_exp_f32_e32 v99, v99
	v_ldexp_f32 v29, v29, v113
	v_cvt_i32_f32_e32 v117, v117
	v_exp_f32_e32 v101, v101
	v_cndmask_b32_e64 v102, 0, v102, s0
	v_cmp_ngt_f32_e64 s0, 0xc2ce8ed0, v89
	v_cvt_i32_f32_e32 v121, v121
	v_ldexp_f32 v99, v99, v117
	v_exp_f32_e32 v103, v103
	v_cvt_i32_f32_e32 v125, v125
	v_cndmask_b32_e64 v104, 0, v104, s0
	v_cmp_ngt_f32_e64 s0, 0xc2ce8ed0, v21
	v_ldexp_f32 v101, v101, v121
	v_exp_f32_e32 v105, v105
	v_cvt_i32_f32_e32 v129, v129
	v_ldexp_f32 v103, v103, v125
	v_cndmask_b32_e64 v29, 0, v29, s0
	v_cmp_ngt_f32_e64 s0, 0xc2ce8ed0, v44
	v_exp_f32_e32 v106, v106
	v_cvt_i32_f32_e32 v131, v131
	v_ldexp_f32 v105, v105, v129
	v_exp_f32_e32 v86, v86
	v_cndmask_b32_e64 v99, 0, v99, s0
	v_cmp_ngt_f32_e64 s0, 0xc2ce8ed0, v53
	v_cvt_i32_f32_e32 v114, v114
	v_ldexp_f32 v106, v106, v131
	v_exp_f32_e32 v107, v107
	v_cvt_i32_f32_e32 v133, v133
	v_cndmask_b32_e64 v101, 0, v101, s0
	v_cmp_ngt_f32_e64 s0, 0xc2ce8ed0, v88
	v_add_f32_e32 v108, v109, v116
	v_add_f32_e32 v109, v110, v120
	;; [unrolled: 1-line block ×3, first 2 shown]
	s_delay_alu instid0(VALU_DEP_4)
	v_dual_add_f32 v111, v112, v128 :: v_dual_cndmask_b32 v103, 0, v103, s0
	v_cmp_ngt_f32_e64 s0, 0xc2ce8ed0, v90
	v_ldexp_f32 v112, v86, v114
	v_ldexp_f32 v107, v107, v133
	v_exp_f32_e32 v108, v108
	v_cvt_i32_f32_e32 v118, v118
	v_cndmask_b32_e64 v105, 0, v105, s0
	v_cmp_ngt_f32_e64 s0, 0xc2ce8ed0, v91
	v_exp_f32_e32 v109, v109
	v_cvt_i32_f32_e32 v122, v122
	v_exp_f32_e32 v110, v110
	v_ldexp_f32 v108, v108, v118
	v_cndmask_b32_e64 v106, 0, v106, s0
	v_cmp_nlt_f32_e64 s0, 0x42b17218, v21
	v_cvt_i32_f32_e32 v126, v126
	v_ldexp_f32 v109, v109, v122
	v_exp_f32_e32 v111, v111
	v_cvt_i32_f32_e32 v130, v130
	s_mov_b32 s14, 0
	v_ldexp_f32 v110, v110, v126
	s_mov_b32 s15, s6
	s_delay_alu instid0(TRANS32_DEP_1) | instid1(VALU_DEP_2)
	v_ldexp_f32 v111, v111, v130
	s_wait_loadcnt 0x0
	v_mul_f32_e32 v86, v28, v20
	v_cndmask_b32_e64 v20, 0x7f800000, v29, s0
	v_cmp_nlt_f32_e64 s0, 0x42b17218, v37
	s_wait_dscnt 0x7
	s_delay_alu instid0(VALU_DEP_3) | instskip(SKIP_4) | instid1(VALU_DEP_2)
	v_pk_mul_f32 v[28:29], v[86:87], v[54:55] op_sel_hi:[0,1]
	s_wait_dscnt 0x6
	v_pk_mul_f32 v[54:55], v[86:87], v[58:59] op_sel_hi:[0,1]
	v_cndmask_b32_e64 v21, 0x7f800000, v98, s0
	v_cmp_ngt_f32_e64 s0, 0xc2ce8ed0, v92
	v_pk_fma_f32 v[28:29], v[30:31], v[20:21], v[28:29]
	s_delay_alu instid0(VALU_DEP_2) | instskip(SKIP_2) | instid1(VALU_DEP_2)
	v_cndmask_b32_e64 v37, 0, v107, s0
	v_cmp_nlt_f32_e64 s0, 0x42b17218, v44
	v_pk_mul_f32 v[30:31], v[86:87], v[56:57] op_sel_hi:[0,1]
	v_cndmask_b32_e64 v44, 0x7f800000, v99, s0
	v_cmp_nlt_f32_e64 s0, 0x42b17218, v45
	s_delay_alu instid0(VALU_DEP_1) | instskip(SKIP_3) | instid1(VALU_DEP_3)
	v_cndmask_b32_e64 v45, 0x7f800000, v100, s0
	v_cmp_nlt_f32_e64 s0, 0x42b17218, v53
	s_wait_dscnt 0x5
	v_fma_f32 v53, v62, v28, 0
	v_pk_fma_f32 v[30:31], v[42:43], v[44:45], v[30:31]
	s_delay_alu instid0(VALU_DEP_3) | instskip(SKIP_1) | instid1(VALU_DEP_4)
	v_cndmask_b32_e64 v20, 0x7f800000, v101, s0
	v_cmp_nlt_f32_e64 s0, 0x42b17218, v87
	v_fmac_f32_e32 v53, v63, v29
	s_delay_alu instid0(VALU_DEP_2) | instskip(SKIP_1) | instid1(VALU_DEP_3)
	v_cndmask_b32_e64 v21, 0x7f800000, v102, s0
	v_cmp_ngt_f32_e64 s0, 0xc2ce8ed0, v93
	v_fmac_f32_e32 v53, v64, v30
	s_delay_alu instid0(VALU_DEP_3) | instskip(NEXT) | instid1(VALU_DEP_3)
	v_pk_fma_f32 v[32:33], v[32:33], v[20:21], v[54:55]
	v_cndmask_b32_e64 v57, 0, v112, s0
	v_cmp_nlt_f32_e64 s0, 0x42b17218, v88
	s_delay_alu instid0(VALU_DEP_4)
	v_fmac_f32_e32 v53, v65, v31
	v_pk_mul_f32 v[20:21], v[86:87], v[60:61] op_sel_hi:[0,1]
	s_wait_dscnt 0x4
	v_pk_mul_f32 v[44:45], v[66:67], v[32:33]
	v_cndmask_b32_e64 v42, 0x7f800000, v103, s0
	v_cmp_nlt_f32_e64 s0, 0x42b17218, v89
	s_delay_alu instid0(VALU_DEP_3) | instskip(NEXT) | instid1(VALU_DEP_2)
	v_add_f32_e32 v44, v53, v44
	v_cndmask_b32_e64 v43, 0x7f800000, v104, s0
	v_cmp_ngt_f32_e64 s0, 0xc2ce8ed0, v94
	s_delay_alu instid0(VALU_DEP_2) | instskip(NEXT) | instid1(VALU_DEP_2)
	v_pk_fma_f32 v[42:43], v[26:27], v[42:43], v[20:21]
	v_cndmask_b32_e64 v58, 0, v108, s0
	v_cmp_nlt_f32_e64 s0, 0x42b17218, v90
	s_wait_dscnt 0x3
	v_pk_mul_f32 v[20:21], v[86:87], v[70:71] op_sel_hi:[0,1]
	v_pk_mul_f32 v[26:27], v[68:69], v[42:43]
	s_delay_alu instid0(VALU_DEP_3) | instskip(SKIP_1) | instid1(VALU_DEP_1)
	v_cndmask_b32_e64 v54, 0x7f800000, v105, s0
	v_cmp_nlt_f32_e64 s0, 0x42b17218, v91
	v_cndmask_b32_e64 v55, 0x7f800000, v106, s0
	v_cmp_ngt_f32_e64 s0, 0xc2ce8ed0, v95
	s_delay_alu instid0(VALU_DEP_1) | instskip(SKIP_4) | instid1(VALU_DEP_4)
	v_cndmask_b32_e64 v59, 0, v109, s0
	v_cmp_nlt_f32_e64 s0, 0x42b17218, v92
	v_add_f32_e32 v53, v44, v45
	v_pk_fma_f32 v[44:45], v[22:23], v[54:55], v[20:21]
	v_pk_mul_f32 v[20:21], v[86:87], v[72:73] op_sel_hi:[0,1]
	v_cndmask_b32_e64 v56, 0x7f800000, v37, s0
	v_cmp_nlt_f32_e64 s0, 0x42b17218, v93
	s_wait_dscnt 0x1
	v_pk_mul_f32 v[22:23], v[78:79], v[44:45]
	v_add_f32_e32 v26, v53, v26
	s_delay_alu instid0(VALU_DEP_3) | instskip(SKIP_1) | instid1(VALU_DEP_3)
	v_cndmask_b32_e64 v57, 0x7f800000, v57, s0
	v_cmp_ngt_f32_e64 s0, 0xc2ce8ed0, v96
	v_add_f32_e32 v27, v26, v27
	s_delay_alu instid0(VALU_DEP_3) | instskip(NEXT) | instid1(VALU_DEP_3)
	v_pk_fma_f32 v[24:25], v[24:25], v[56:57], v[20:21]
	v_cndmask_b32_e64 v37, 0, v110, s0
	v_cmp_nlt_f32_e64 s0, 0x42b17218, v94
	v_pk_mul_f32 v[20:21], v[86:87], v[74:75] op_sel_hi:[0,1]
	s_delay_alu instid0(VALU_DEP_4) | instskip(SKIP_1) | instid1(VALU_DEP_4)
	v_pk_mul_f32 v[54:55], v[80:81], v[24:25]
	v_add_f32_e32 v22, v27, v22
	v_cndmask_b32_e64 v26, 0x7f800000, v58, s0
	v_cmp_nlt_f32_e64 s0, 0x42b17218, v95
	s_delay_alu instid0(VALU_DEP_3) | instskip(NEXT) | instid1(VALU_DEP_2)
	v_add_f32_e32 v23, v22, v23
	v_cndmask_b32_e64 v27, 0x7f800000, v59, s0
	v_cmp_ngt_f32_e64 s0, 0xc2ce8ed0, v97
	s_delay_alu instid0(VALU_DEP_2) | instskip(NEXT) | instid1(VALU_DEP_2)
	v_pk_fma_f32 v[20:21], v[18:19], v[26:27], v[20:21]
	v_cndmask_b32_e64 v53, 0, v111, s0
	v_cmp_nlt_f32_e64 s0, 0x42b17218, v96
	v_pk_mul_f32 v[18:19], v[86:87], v[76:77] op_sel_hi:[0,1]
	s_wait_dscnt 0x0
	v_pk_mul_f32 v[26:27], v[82:83], v[20:21]
	s_delay_alu instid0(VALU_DEP_3) | instskip(SKIP_2) | instid1(VALU_DEP_2)
	v_cndmask_b32_e64 v22, 0x7f800000, v37, s0
	v_cmp_nlt_f32_e64 s0, 0x42b17218, v97
	v_add_f32_e32 v37, v23, v54
	v_cndmask_b32_e64 v23, 0x7f800000, v53, s0
	s_delay_alu instid0(VALU_DEP_2) | instskip(SKIP_1) | instid1(VALU_DEP_2)
	v_add_f32_e32 v37, v37, v55
	s_ashr_i64 s[0:1], s[14:15], 30
	v_pk_fma_f32 v[22:23], v[46:47], v[22:23], v[18:19]
	s_delay_alu instid0(VALU_DEP_1) | instskip(NEXT) | instid1(VALU_DEP_3)
	v_pk_mul_f32 v[18:19], v[84:85], v[22:23]
	v_add_f32_e32 v26, v37, v26
	s_delay_alu instid0(VALU_DEP_1) | instskip(NEXT) | instid1(VALU_DEP_1)
	v_add_f32_e32 v26, v26, v27
	v_add_f32_e32 v18, v26, v18
	v_add_nc_u64_e32 v[26:27], s[0:1], v[0:1]
	s_delay_alu instid0(VALU_DEP_2)
	v_add_f32_e32 v18, v18, v19
	global_store_b32 v[26:27], v18, off
	s_wait_storecnt 0x0
	s_barrier_signal -1
	s_barrier_wait -1
	s_wait_xcnt 0x0
	s_and_saveexec_b32 s0, vcc_lo
	s_cbranch_execz .LBB5_10
; %bb.9:
	v_lshl_add_u64 v[18:19], s[8:9], 3, v[40:41]
	v_lshl_add_u64 v[26:27], s[2:3], 3, v[38:39]
	global_load_b32 v37, v[18:19], off
	global_load_b32 v46, v[26:27], off
	s_wait_loadcnt 0x1
	ds_store_b32 v36, v37
	s_wait_loadcnt 0x0
	ds_store_b32 v52, v46
.LBB5_10:
	s_or_b32 exec_lo, exec_lo, s0
	s_lshl_b64 s[16:17], s[12:13], 2
	s_wait_dscnt 0x0
	v_add_nc_u64_e32 v[26:27], s[16:17], v[48:49]
	s_barrier_signal -1
	s_barrier_wait -1
	s_mov_b32 s1, exec_lo
	global_load_b32 v37, v[26:27], off
	s_wait_loadcnt 0x0
	v_cmpx_ge_f32_e32 0x41a00000, v37
	s_cbranch_execz .LBB5_12
; %bb.11:
	v_mul_f32_e32 v18, 0x3fb8aa3b, v37
	v_cmp_ngt_f32_e64 s0, 0xc2ce8ed0, v37
	s_delay_alu instid0(VALU_DEP_2) | instskip(SKIP_1) | instid1(VALU_DEP_2)
	v_rndne_f32_e32 v19, v18
	v_fma_f32 v46, 0x3fb8aa3b, v37, -v18
	v_sub_f32_e32 v18, v18, v19
	s_delay_alu instid0(VALU_DEP_2) | instskip(SKIP_1) | instid1(VALU_DEP_2)
	v_fmamk_f32 v46, v37, 0x32a5705f, v46
	v_cvt_i32_f32_e32 v19, v19
	v_add_f32_e32 v18, v18, v46
	s_delay_alu instid0(VALU_DEP_1) | instskip(SKIP_1) | instid1(TRANS32_DEP_1)
	v_exp_f32_e32 v18, v18
	v_nop
	v_ldexp_f32 v18, v18, v19
	s_delay_alu instid0(VALU_DEP_1) | instskip(SKIP_1) | instid1(VALU_DEP_1)
	v_cndmask_b32_e64 v18, 0, v18, s0
	v_cmp_nlt_f32_e64 s0, 0x42b17218, v37
	v_cndmask_b32_e64 v53, 0x7f800000, v18, s0
	s_delay_alu instid0(VALU_DEP_1) | instskip(NEXT) | instid1(VALU_DEP_1)
	v_add_f32_e32 v37, 1.0, v53
	v_cvt_f64_f32_e32 v[18:19], v37
	s_delay_alu instid0(VALU_DEP_1) | instskip(SKIP_1) | instid1(VALU_DEP_1)
	v_frexp_exp_i32_f64_e32 v18, v[18:19]
	v_frexp_mant_f32_e32 v19, v37
	v_cmp_gt_f32_e64 s0, 0x3f2aaaab, v19
	s_delay_alu instid0(VALU_DEP_1) | instskip(SKIP_2) | instid1(VALU_DEP_1)
	v_subrev_co_ci_u32_e64 v54, null, 0, v18, s0
	v_add_f32_e32 v18, -1.0, v37
	s_mov_b32 s0, 0x3e9b6dac
	v_dual_sub_f32 v46, v18, v37 :: v_dual_sub_nc_u32 v19, 0, v54
	s_delay_alu instid0(VALU_DEP_1) | instskip(NEXT) | instid1(VALU_DEP_1)
	v_ldexp_f32 v37, v37, v19
	v_dual_add_f32 v47, 1.0, v37 :: v_dual_add_f32 v49, -1.0, v37
	v_sub_f32_e32 v18, v53, v18
	s_delay_alu instid0(VALU_DEP_4) | instskip(NEXT) | instid1(VALU_DEP_1)
	v_add_f32_e32 v46, 1.0, v46
	v_dual_add_f32 v18, v18, v46 :: v_dual_add_f32 v46, -1.0, v47
	s_delay_alu instid0(VALU_DEP_1) | instskip(NEXT) | instid1(VALU_DEP_2)
	v_ldexp_f32 v18, v18, v19
	v_dual_sub_f32 v19, v37, v46 :: v_dual_add_f32 v46, 1.0, v49
	s_delay_alu instid0(VALU_DEP_1) | instskip(NEXT) | instid1(VALU_DEP_1)
	v_dual_add_f32 v48, v18, v19 :: v_dual_sub_f32 v19, v37, v46
	v_add_f32_e32 v37, v47, v48
	s_delay_alu instid0(VALU_DEP_1) | instskip(NEXT) | instid1(VALU_DEP_2)
	v_rcp_f32_e32 v56, v37
	v_dual_add_f32 v55, v18, v19 :: v_dual_sub_f32 v18, v47, v37
	s_delay_alu instid0(VALU_DEP_1)
	v_dual_add_f32 v19, v49, v55 :: v_dual_add_f32 v58, v48, v18
	s_delay_alu instid0(TRANS32_DEP_1) | instid1(VALU_DEP_1)
	v_dual_mul_f32 v57, v19, v56 :: v_dual_sub_f32 v59, v49, v19
	s_delay_alu instid0(VALU_DEP_1) | instskip(NEXT) | instid1(VALU_DEP_1)
	v_mul_f32_e32 v46, v37, v57
	v_fma_f32 v48, v57, v37, -v46
	s_delay_alu instid0(VALU_DEP_1) | instskip(NEXT) | instid1(VALU_DEP_1)
	v_fmac_f32_e32 v48, v57, v58
	v_add_f32_e32 v18, v46, v48
	s_delay_alu instid0(VALU_DEP_1) | instskip(NEXT) | instid1(VALU_DEP_1)
	v_dual_sub_f32 v47, v19, v18 :: v_dual_mov_b32 v49, v18
	v_pk_add_f32 v[18:19], v[18:19], v[46:47] neg_lo:[0,1] neg_hi:[0,1]
	v_add_f32_e32 v46, v55, v59
	s_delay_alu instid0(VALU_DEP_2) | instskip(NEXT) | instid1(VALU_DEP_1)
	v_pk_add_f32 v[18:19], v[18:19], v[48:49] neg_lo:[0,1] neg_hi:[0,1]
	v_add_f32_e32 v19, v46, v19
	s_delay_alu instid0(VALU_DEP_1) | instskip(NEXT) | instid1(VALU_DEP_1)
	v_add_f32_e32 v55, v18, v19
	v_add_f32_e32 v19, v47, v55
	s_delay_alu instid0(VALU_DEP_1) | instskip(NEXT) | instid1(VALU_DEP_1)
	v_mul_f32_e32 v59, v56, v19
	v_mul_f32_e32 v48, v37, v59
	s_delay_alu instid0(VALU_DEP_1) | instskip(NEXT) | instid1(VALU_DEP_1)
	v_fma_f32 v46, v59, v37, -v48
	v_fmac_f32_e32 v46, v59, v58
	s_delay_alu instid0(VALU_DEP_1) | instskip(NEXT) | instid1(VALU_DEP_1)
	v_dual_add_f32 v18, v48, v46 :: v_dual_sub_f32 v37, v47, v19
	v_dual_mov_b32 v47, v18 :: v_dual_add_f32 v37, v55, v37
	v_sub_f32_e32 v49, v19, v18
	s_delay_alu instid0(VALU_DEP_1) | instskip(NEXT) | instid1(VALU_DEP_1)
	v_pk_add_f32 v[18:19], v[18:19], v[48:49] neg_lo:[0,1] neg_hi:[0,1]
	v_pk_add_f32 v[18:19], v[18:19], v[46:47] neg_lo:[0,1] neg_hi:[0,1]
	v_cvt_f32_i32_e32 v46, v54
	s_delay_alu instid0(VALU_DEP_2) | instskip(NEXT) | instid1(VALU_DEP_1)
	v_add_f32_e32 v19, v37, v19
	v_add_f32_e32 v18, v18, v19
	s_delay_alu instid0(VALU_DEP_1) | instskip(NEXT) | instid1(VALU_DEP_1)
	v_add_f32_e32 v18, v49, v18
	v_dual_add_f32 v37, v57, v59 :: v_dual_mul_f32 v18, v56, v18
	s_delay_alu instid0(VALU_DEP_1) | instskip(NEXT) | instid1(VALU_DEP_1)
	v_sub_f32_e32 v19, v37, v57
	v_sub_f32_e32 v19, v59, v19
	s_delay_alu instid0(VALU_DEP_1) | instskip(NEXT) | instid1(VALU_DEP_1)
	v_dual_add_f32 v55, v19, v18 :: v_dual_mov_b32 v18, 0x3f317218
	v_add_f32_e32 v48, v37, v55
	s_delay_alu instid0(VALU_DEP_1) | instskip(NEXT) | instid1(VALU_DEP_1)
	v_mul_f32_e32 v19, v48, v48
	v_fmaak_f32 v49, s0, v19, 0x3ecc95a3
	v_mul_f32_e32 v47, v48, v19
	v_cmp_neq_f32_e64 s0, 0x7f800000, v53
	s_delay_alu instid0(VALU_DEP_3) | instskip(NEXT) | instid1(VALU_DEP_1)
	v_fmaak_f32 v19, v19, v49, 0x3f2aaada
	v_pk_mul_f32 v[18:19], v[46:47], v[18:19]
	v_ldexp_f32 v47, v48, 1
	v_sub_f32_e32 v37, v48, v37
	s_delay_alu instid0(VALU_DEP_3) | instskip(SKIP_1) | instid1(VALU_DEP_2)
	v_fma_f32 v49, 0x3f317218, v46, -v18
	v_mov_b32_e32 v54, v18
	v_fmamk_f32 v46, v46, 0xb102e308, v49
	s_delay_alu instid0(VALU_DEP_1) | instskip(NEXT) | instid1(VALU_DEP_1)
	v_pk_add_f32 v[48:49], v[18:19], v[46:47]
	v_dual_sub_f32 v47, v49, v47 :: v_dual_sub_f32 v37, v55, v37
	s_delay_alu instid0(VALU_DEP_1) | instskip(NEXT) | instid1(VALU_DEP_2)
	v_dual_mov_b32 v62, v49 :: v_dual_sub_f32 v47, v19, v47
	v_ldexp_f32 v37, v37, 1
	s_delay_alu instid0(VALU_DEP_4) | instskip(NEXT) | instid1(VALU_DEP_2)
	v_pk_add_f32 v[18:19], v[48:49], v[18:19] neg_lo:[0,1] neg_hi:[0,1]
	v_dual_add_f32 v55, v37, v47 :: v_dual_mov_b32 v47, v48
	s_delay_alu instid0(VALU_DEP_1) | instskip(NEXT) | instid1(VALU_DEP_1)
	v_pk_add_f32 v[56:57], v[48:49], v[54:55]
	v_mov_b32_e32 v19, v57
	s_delay_alu instid0(VALU_DEP_1) | instskip(SKIP_1) | instid1(VALU_DEP_2)
	v_pk_add_f32 v[58:59], v[46:47], v[18:19]
	v_pk_add_f32 v[18:19], v[46:47], v[18:19] neg_lo:[0,1] neg_hi:[0,1]
	v_dual_mov_b32 v54, v59 :: v_dual_mov_b32 v19, v59
	s_delay_alu instid0(VALU_DEP_1) | instskip(SKIP_1) | instid1(VALU_DEP_2)
	v_pk_add_f32 v[60:61], v[54:55], v[48:49] neg_lo:[0,1] neg_hi:[0,1]
	v_dual_mov_b32 v58, v57 :: v_dual_mov_b32 v49, v48
	v_dual_mov_b32 v48, v55 :: v_dual_mov_b32 v63, v60
	v_mov_b32_e32 v37, v60
	s_delay_alu instid0(VALU_DEP_2) | instskip(NEXT) | instid1(VALU_DEP_2)
	v_pk_add_f32 v[60:61], v[58:59], v[62:63] neg_lo:[0,1] neg_hi:[0,1]
	v_pk_add_f32 v[46:47], v[56:57], v[36:37] neg_lo:[0,1] neg_hi:[0,1]
	v_mov_b32_e32 v46, v18
	s_delay_alu instid0(VALU_DEP_3) | instskip(NEXT) | instid1(VALU_DEP_1)
	v_pk_add_f32 v[48:49], v[48:49], v[60:61] neg_lo:[0,1] neg_hi:[0,1]
	v_pk_add_f32 v[46:47], v[46:47], v[48:49]
	s_delay_alu instid0(VALU_DEP_1) | instskip(NEXT) | instid1(VALU_DEP_1)
	v_mov_b32_e32 v56, v47
	v_pk_add_f32 v[56:57], v[46:47], v[56:57]
	s_delay_alu instid0(VALU_DEP_1) | instskip(NEXT) | instid1(VALU_DEP_1)
	v_pk_add_f32 v[54:55], v[54:55], v[56:57]
	v_dual_mov_b32 v49, v56 :: v_dual_mov_b32 v47, v54
	s_delay_alu instid0(VALU_DEP_1) | instskip(NEXT) | instid1(VALU_DEP_1)
	v_pk_add_f32 v[58:59], v[46:47], v[18:19] neg_lo:[0,1] neg_hi:[0,1]
	v_sub_f32_e32 v19, v46, v58
	s_delay_alu instid0(VALU_DEP_2) | instskip(NEXT) | instid1(VALU_DEP_2)
	v_pk_add_f32 v[46:47], v[48:49], v[58:59] neg_lo:[0,1] neg_hi:[0,1]
	v_sub_f32_e32 v18, v18, v19
	s_delay_alu instid0(VALU_DEP_1) | instskip(NEXT) | instid1(VALU_DEP_1)
	v_add_f32_e32 v18, v46, v18
	v_add_f32_e32 v18, v18, v47
	s_delay_alu instid0(VALU_DEP_1) | instskip(NEXT) | instid1(VALU_DEP_1)
	v_add_f32_e32 v18, v54, v18
	v_cndmask_b32_e64 v18, 0x7f800000, v18, s0
	v_cmp_gt_f32_e64 s0, 0x33800000, v53
	s_delay_alu instid0(VALU_DEP_1)
	v_cndmask_b32_e64 v37, v18, v53, s0
.LBB5_12:
	s_or_b32 exec_lo, exec_lo, s1
	s_lshl_b64 s[12:13], s[22:23], 2
	s_delay_alu instid0(VALU_DEP_1) | instskip(SKIP_3) | instid1(VALU_DEP_4)
	v_dual_mul_f32 v47, v37, v14 :: v_dual_mov_b32 v53, 0
	v_add_nc_u64_e32 v[18:19], s[12:13], v[50:51]
	v_dual_mul_f32 v85, v37, v17 :: v_dual_mul_f32 v86, v37, v10
	v_dual_mul_f32 v83, v37, v15 :: v_dual_mul_f32 v84, v37, v16
	;; [unrolled: 1-line block ×3, first 2 shown]
	global_load_b32 v46, v[18:19], off
	v_dual_mul_f32 v100, 0x3fb8aa3b, v85 :: v_dual_mul_f32 v101, 0x3fb8aa3b, v86
	v_dual_mul_f32 v98, 0x3fb8aa3b, v83 :: v_dual_mul_f32 v99, 0x3fb8aa3b, v84
	ds_load_b128 v[48:51], v53
	ds_load_b128 v[54:57], v53 offset:16
	ds_load_b128 v[58:61], v53 offset:32
	ds_load_b128 v[62:65], v53 offset:48
	ds_load_b128 v[66:69], v53 offset:64
	ds_load_b128 v[70:73], v53 offset:80
	ds_load_b128 v[74:77], v53 offset:96
	ds_load_b128 v[78:81], v53 offset:112
	v_fma_f32 v53, 0x3fb8aa3b, v47, -v82
	v_rndne_f32_e32 v113, v82
	v_rndne_f32_e32 v132, v101
	v_dual_mul_f32 v112, 0x3fb8aa3b, v97 :: v_dual_mul_f32 v87, v37, v11
	v_mul_f32_e32 v88, v37, v12
	v_fma_f32 v114, 0x3fb8aa3b, v83, -v98
	v_rndne_f32_e32 v115, v98
	v_fma_f32 v116, 0x3fb8aa3b, v84, -v99
	v_fma_f32 v119, 0x3fb8aa3b, v86, -v101
	v_rndne_f32_e32 v130, v100
	v_dual_fmac_f32 v53, 0x32a5705f, v47 :: v_dual_sub_f32 v82, v82, v113
	v_sub_f32_e32 v101, v101, v132
	v_rndne_f32_e32 v143, v112
	v_dual_mul_f32 v89, v37, v13 :: v_dual_mul_f32 v90, v37, v6
	v_dual_mul_f32 v91, v37, v7 :: v_dual_mul_f32 v92, v37, v8
	;; [unrolled: 1-line block ×5, first 2 shown]
	v_rndne_f32_e32 v117, v99
	v_fma_f32 v118, 0x3fb8aa3b, v85, -v100
	v_fma_f32 v131, 0x3fb8aa3b, v97, -v112
	v_dual_fmac_f32 v114, 0x32a5705f, v83 :: v_dual_fmac_f32 v119, 0x32a5705f, v86
	v_fmac_f32_e32 v116, 0x32a5705f, v84
	v_dual_sub_f32 v98, v98, v115 :: v_dual_sub_f32 v99, v99, v117
	v_sub_f32_e32 v100, v100, v130
	v_dual_sub_f32 v112, v112, v143 :: v_dual_add_f32 v53, v82, v53
	v_dual_mul_f32 v104, 0x3fb8aa3b, v89 :: v_dual_mul_f32 v105, 0x3fb8aa3b, v90
	v_dual_mul_f32 v106, 0x3fb8aa3b, v91 :: v_dual_mul_f32 v107, 0x3fb8aa3b, v92
	;; [unrolled: 1-line block ×4, first 2 shown]
	v_fma_f32 v121, 0x3fb8aa3b, v88, -v103
	v_fmac_f32_e32 v118, 0x32a5705f, v85
	v_dual_add_f32 v82, v98, v114 :: v_dual_add_f32 v98, v99, v116
	v_exp_f32_e32 v53, v53
	v_fma_f32 v120, 0x3fb8aa3b, v87, -v102
	v_fma_f32 v122, 0x3fb8aa3b, v89, -v104
	;; [unrolled: 1-line block ×9, first 2 shown]
	v_rndne_f32_e32 v133, v102
	v_rndne_f32_e32 v134, v103
	v_rndne_f32_e32 v135, v104
	v_rndne_f32_e32 v136, v105
	v_rndne_f32_e32 v137, v106
	v_rndne_f32_e32 v138, v107
	v_rndne_f32_e32 v139, v108
	v_rndne_f32_e32 v140, v109
	v_rndne_f32_e32 v141, v110
	v_rndne_f32_e32 v142, v111
	v_cvt_i32_f32_e32 v113, v113
	v_fmac_f32_e32 v121, 0x32a5705f, v88
	v_dual_add_f32 v99, v100, v118 :: v_dual_add_f32 v100, v101, v119
	v_exp_f32_e32 v82, v82
	v_dual_fmac_f32 v120, 0x32a5705f, v87 :: v_dual_fmac_f32 v123, 0x32a5705f, v90
	v_dual_fmac_f32 v122, 0x32a5705f, v89 :: v_dual_fmac_f32 v125, 0x32a5705f, v92
	;; [unrolled: 1-line block ×5, first 2 shown]
	v_dual_sub_f32 v102, v102, v133 :: v_dual_sub_f32 v103, v103, v134
	v_dual_sub_f32 v104, v104, v135 :: v_dual_sub_f32 v105, v105, v136
	;; [unrolled: 1-line block ×5, first 2 shown]
	v_cvt_i32_f32_e32 v115, v115
	v_ldexp_f32 v53, v53, v113
	v_cmp_ngt_f32_e64 s0, 0xc2ce8ed0, v47
	v_exp_f32_e32 v98, v98
	v_exp_f32_e32 v99, v99
	v_cvt_i32_f32_e32 v117, v117
	v_cvt_i32_f32_e32 v130, v130
	v_dual_add_f32 v101, v102, v120 :: v_dual_add_f32 v102, v103, v121
	v_dual_add_f32 v103, v104, v122 :: v_dual_add_f32 v104, v105, v123
	;; [unrolled: 1-line block ×5, first 2 shown]
	v_dual_add_f32 v111, v112, v131 :: v_dual_cndmask_b32 v53, 0, v53, s0
	v_ldexp_f32 v82, v82, v115
	v_cmp_ngt_f32_e64 s0, 0xc2ce8ed0, v83
	v_exp_f32_e32 v100, v100
	v_cvt_i32_f32_e32 v132, v132
	v_ldexp_f32 v98, v98, v117
	v_ldexp_f32 v99, v99, v130
	v_cndmask_b32_e64 v112, 0, v82, s0
	v_cmp_ngt_f32_e64 s0, 0xc2ce8ed0, v84
	v_exp_f32_e32 v101, v101
	v_ldexp_f32 v100, v100, v132
	v_cvt_i32_f32_e32 v133, v133
	v_exp_f32_e32 v102, v102
	v_cndmask_b32_e64 v98, 0, v98, s0
	v_cmp_ngt_f32_e64 s0, 0xc2ce8ed0, v85
	v_cvt_i32_f32_e32 v134, v134
	v_ldexp_f32 v101, v101, v133
	v_exp_f32_e32 v103, v103
	v_cvt_i32_f32_e32 v135, v135
	v_cndmask_b32_e64 v99, 0, v99, s0
	v_cmp_ngt_f32_e64 s0, 0xc2ce8ed0, v86
	v_ldexp_f32 v102, v102, v134
	v_exp_f32_e32 v104, v104
	v_cvt_i32_f32_e32 v136, v136
	v_ldexp_f32 v103, v103, v135
	v_cndmask_b32_e64 v100, 0, v100, s0
	v_cmp_ngt_f32_e64 s0, 0xc2ce8ed0, v87
	v_exp_f32_e32 v105, v105
	v_cvt_i32_f32_e32 v137, v137
	v_ldexp_f32 v104, v104, v136
	v_exp_f32_e32 v106, v106
	v_cndmask_b32_e64 v101, 0, v101, s0
	v_cmp_ngt_f32_e64 s0, 0xc2ce8ed0, v88
	v_cvt_i32_f32_e32 v138, v138
	v_ldexp_f32 v105, v105, v137
	v_exp_f32_e32 v107, v107
	v_cvt_i32_f32_e32 v139, v139
	v_cndmask_b32_e64 v102, 0, v102, s0
	v_cmp_ngt_f32_e64 s0, 0xc2ce8ed0, v89
	v_ldexp_f32 v106, v106, v138
	v_exp_f32_e32 v108, v108
	v_cvt_i32_f32_e32 v140, v140
	v_ldexp_f32 v107, v107, v139
	v_cndmask_b32_e64 v103, 0, v103, s0
	v_cmp_ngt_f32_e64 s0, 0xc2ce8ed0, v90
	v_exp_f32_e32 v109, v109
	v_cvt_i32_f32_e32 v141, v141
	v_ldexp_f32 v108, v108, v140
	v_exp_f32_e32 v110, v110
	v_cndmask_b32_e64 v104, 0, v104, s0
	v_cmp_ngt_f32_e64 s0, 0xc2ce8ed0, v91
	v_cvt_i32_f32_e32 v142, v142
	v_ldexp_f32 v109, v109, v141
	v_exp_f32_e32 v111, v111
	v_cvt_i32_f32_e32 v143, v143
	v_cndmask_b32_e64 v105, 0, v105, s0
	v_cmp_nlt_f32_e64 s0, 0x42b17218, v47
	v_ldexp_f32 v110, v110, v142
	s_delay_alu instid0(TRANS32_DEP_1) | instid1(VALU_DEP_4)
	v_ldexp_f32 v111, v111, v143
	s_wait_loadcnt 0x0
	v_mul_f32_e32 v82, v37, v46
	v_cndmask_b32_e64 v46, 0x7f800000, v53, s0
	v_cmp_nlt_f32_e64 s0, 0x42b17218, v83
	s_wait_dscnt 0x7
	s_delay_alu instid0(VALU_DEP_3) | instskip(NEXT) | instid1(VALU_DEP_2)
	v_pk_mul_f32 v[48:49], v[82:83], v[48:49] op_sel_hi:[0,1]
	v_cndmask_b32_e64 v47, 0x7f800000, v112, s0
	v_cmp_ngt_f32_e64 s0, 0xc2ce8ed0, v92
	s_delay_alu instid0(VALU_DEP_2)
	v_pk_fma_f32 v[48:49], v[28:29], v[46:47], v[48:49]
	v_pk_mul_f32 v[46:47], v[82:83], v[50:51] op_sel_hi:[0,1]
	s_wait_dscnt 0x6
	v_pk_mul_f32 v[50:51], v[82:83], v[54:55] op_sel_hi:[0,1]
	s_wait_dscnt 0x3
	v_fma_f32 v53, v66, v48, 0
	v_cndmask_b32_e64 v37, 0, v106, s0
	v_cmp_nlt_f32_e64 s0, 0x42b17218, v84
	s_delay_alu instid0(VALU_DEP_3) | instskip(NEXT) | instid1(VALU_DEP_2)
	v_fmac_f32_e32 v53, v67, v49
	v_cndmask_b32_e64 v84, 0x7f800000, v98, s0
	v_cmp_nlt_f32_e64 s0, 0x42b17218, v85
	s_delay_alu instid0(VALU_DEP_1) | instskip(SKIP_1) | instid1(VALU_DEP_2)
	v_cndmask_b32_e64 v85, 0x7f800000, v99, s0
	v_cmp_nlt_f32_e64 s0, 0x42b17218, v86
	v_pk_fma_f32 v[46:47], v[30:31], v[84:85], v[46:47]
	s_delay_alu instid0(VALU_DEP_2) | instskip(SKIP_1) | instid1(VALU_DEP_3)
	v_cndmask_b32_e64 v28, 0x7f800000, v100, s0
	v_cmp_nlt_f32_e64 s0, 0x42b17218, v87
	v_fmac_f32_e32 v53, v68, v46
	s_delay_alu instid0(VALU_DEP_2) | instskip(SKIP_1) | instid1(VALU_DEP_2)
	v_cndmask_b32_e64 v29, 0x7f800000, v101, s0
	v_cmp_ngt_f32_e64 s0, 0xc2ce8ed0, v93
	v_pk_fma_f32 v[32:33], v[32:33], v[28:29], v[50:51]
	s_delay_alu instid0(VALU_DEP_2) | instskip(SKIP_4) | instid1(VALU_DEP_3)
	v_cndmask_b32_e64 v66, 0, v107, s0
	v_cmp_nlt_f32_e64 s0, 0x42b17218, v88
	v_pk_mul_f32 v[28:29], v[82:83], v[56:57] op_sel_hi:[0,1]
	s_wait_dscnt 0x2
	v_pk_mul_f32 v[50:51], v[70:71], v[32:33]
	v_cndmask_b32_e64 v30, 0x7f800000, v102, s0
	v_cmp_nlt_f32_e64 s0, 0x42b17218, v89
	s_delay_alu instid0(VALU_DEP_1) | instskip(SKIP_2) | instid1(VALU_DEP_3)
	v_cndmask_b32_e64 v31, 0x7f800000, v103, s0
	v_cmp_ngt_f32_e64 s0, 0xc2ce8ed0, v94
	v_fmac_f32_e32 v53, v69, v47
	v_pk_fma_f32 v[30:31], v[42:43], v[30:31], v[28:29]
	s_delay_alu instid0(VALU_DEP_3) | instskip(SKIP_2) | instid1(VALU_DEP_4)
	v_cndmask_b32_e64 v56, 0, v108, s0
	v_cmp_nlt_f32_e64 s0, 0x42b17218, v90
	v_pk_mul_f32 v[28:29], v[82:83], v[58:59] op_sel_hi:[0,1]
	v_pk_mul_f32 v[42:43], v[72:73], v[30:31]
	s_delay_alu instid0(VALU_DEP_3) | instskip(SKIP_1) | instid1(VALU_DEP_1)
	v_cndmask_b32_e64 v54, 0x7f800000, v104, s0
	v_cmp_nlt_f32_e64 s0, 0x42b17218, v91
	v_cndmask_b32_e64 v55, 0x7f800000, v105, s0
	v_cmp_ngt_f32_e64 s0, 0xc2ce8ed0, v95
	v_add_f32_e32 v50, v53, v50
	s_delay_alu instid0(VALU_DEP_3) | instskip(NEXT) | instid1(VALU_DEP_3)
	v_pk_fma_f32 v[28:29], v[44:45], v[54:55], v[28:29]
	v_cndmask_b32_e64 v53, 0, v109, s0
	v_cmp_nlt_f32_e64 s0, 0x42b17218, v92
	s_delay_alu instid0(VALU_DEP_4)
	v_add_f32_e32 v51, v50, v51
	v_pk_mul_f32 v[44:45], v[82:83], v[60:61] op_sel_hi:[0,1]
	s_wait_dscnt 0x1
	v_pk_mul_f32 v[54:55], v[74:75], v[28:29]
	v_cndmask_b32_e64 v50, 0x7f800000, v37, s0
	v_cmp_nlt_f32_e64 s0, 0x42b17218, v93
	v_add_f32_e32 v37, v51, v42
	s_delay_alu instid0(VALU_DEP_2) | instskip(SKIP_1) | instid1(VALU_DEP_3)
	v_cndmask_b32_e64 v51, 0x7f800000, v66, s0
	v_cmp_ngt_f32_e64 s0, 0xc2ce8ed0, v96
	v_add_f32_e32 v37, v37, v43
	s_delay_alu instid0(VALU_DEP_3) | instskip(NEXT) | instid1(VALU_DEP_3)
	v_pk_fma_f32 v[42:43], v[24:25], v[50:51], v[44:45]
	v_cndmask_b32_e64 v58, 0, v110, s0
	v_cmp_nlt_f32_e64 s0, 0x42b17218, v94
	v_pk_mul_f32 v[24:25], v[82:83], v[62:63] op_sel_hi:[0,1]
	s_delay_alu instid0(VALU_DEP_4) | instskip(NEXT) | instid1(VALU_DEP_3)
	v_pk_mul_f32 v[44:45], v[76:77], v[42:43]
	v_cndmask_b32_e64 v56, 0x7f800000, v56, s0
	v_cmp_nlt_f32_e64 s0, 0x42b17218, v95
	s_delay_alu instid0(VALU_DEP_1) | instskip(SKIP_1) | instid1(VALU_DEP_2)
	v_cndmask_b32_e64 v57, 0x7f800000, v53, s0
	v_cmp_ngt_f32_e64 s0, 0xc2ce8ed0, v97
	v_pk_fma_f32 v[24:25], v[20:21], v[56:57], v[24:25]
	s_delay_alu instid0(VALU_DEP_2) | instskip(SKIP_2) | instid1(VALU_DEP_2)
	v_cndmask_b32_e64 v51, 0, v111, s0
	v_cmp_nlt_f32_e64 s0, 0x42b17218, v96
	v_pk_mul_f32 v[20:21], v[82:83], v[64:65] op_sel_hi:[0,1]
	v_cndmask_b32_e64 v50, 0x7f800000, v58, s0
	v_cmp_nlt_f32_e64 s0, 0x42b17218, v97
	s_delay_alu instid0(VALU_DEP_1) | instskip(SKIP_1) | instid1(VALU_DEP_1)
	v_cndmask_b32_e64 v51, 0x7f800000, v51, s0
	s_ashr_i64 s[0:1], s[14:15], 29
	v_pk_fma_f32 v[20:21], v[22:23], v[50:51], v[20:21]
	s_wait_dscnt 0x0
	s_delay_alu instid0(VALU_DEP_1) | instskip(SKIP_1) | instid1(VALU_DEP_1)
	v_pk_mul_f32 v[22:23], v[80:81], v[20:21]
	v_add_f32_e32 v37, v37, v54
	v_add_f32_e32 v37, v37, v55
	v_pk_mul_f32 v[54:55], v[78:79], v[24:25]
	s_delay_alu instid0(VALU_DEP_2) | instskip(NEXT) | instid1(VALU_DEP_1)
	v_add_f32_e32 v37, v37, v44
	v_add_f32_e32 v37, v37, v45
	v_add_nc_u64_e32 v[44:45], s[0:1], v[0:1]
	s_delay_alu instid0(VALU_DEP_2) | instskip(NEXT) | instid1(VALU_DEP_1)
	v_add_f32_e32 v37, v37, v54
	v_add_f32_e32 v37, v37, v55
	s_delay_alu instid0(VALU_DEP_1) | instskip(NEXT) | instid1(VALU_DEP_1)
	v_add_f32_e32 v22, v37, v22
	v_add_f32_e32 v22, v22, v23
	global_store_b32 v[44:45], v22, off
	s_wait_storecnt 0x0
	s_barrier_signal -1
	s_barrier_wait -1
	s_wait_xcnt 0x0
	s_and_saveexec_b32 s0, vcc_lo
	s_cbranch_execz .LBB5_14
; %bb.13:
	v_mad_nc_i64_i32 v[22:23], s8, 12, v[40:41]
	v_mad_nc_i64_i32 v[38:39], s2, 12, v[38:39]
	global_load_b32 v37, v[22:23], off
	global_load_b32 v40, v[38:39], off
	s_wait_loadcnt 0x1
	ds_store_b32 v36, v37
	s_wait_loadcnt 0x0
	ds_store_b32 v52, v40
.LBB5_14:
	s_or_b32 exec_lo, exec_lo, s0
	v_add_nc_u64_e32 v[22:23], s[16:17], v[26:27]
	s_wait_dscnt 0x0
	s_barrier_signal -1
	s_barrier_wait -1
	s_bfe_i64 s[0:1], s[6:7], 0x200000
	s_mov_b32 s1, exec_lo
	global_load_b32 v22, v[22:23], off
	s_wait_loadcnt 0x0
	v_cmpx_ge_f32_e32 0x41a00000, v22
	s_cbranch_execz .LBB5_16
; %bb.15:
	v_mul_f32_e32 v23, 0x3fb8aa3b, v22
	v_cmp_ngt_f32_e32 vcc_lo, 0xc2ce8ed0, v22
	s_mov_b32 s2, 0x3e9b6dac
	s_delay_alu instid0(VALU_DEP_2) | instskip(SKIP_1) | instid1(VALU_DEP_2)
	v_rndne_f32_e32 v26, v23
	v_fma_f32 v27, 0x3fb8aa3b, v22, -v23
	v_sub_f32_e32 v23, v23, v26
	s_delay_alu instid0(VALU_DEP_2) | instskip(SKIP_1) | instid1(VALU_DEP_2)
	v_fmamk_f32 v27, v22, 0x32a5705f, v27
	v_cvt_i32_f32_e32 v26, v26
	v_add_f32_e32 v23, v23, v27
	s_delay_alu instid0(VALU_DEP_1) | instskip(SKIP_1) | instid1(TRANS32_DEP_1)
	v_exp_f32_e32 v23, v23
	v_nop
	v_ldexp_f32 v23, v23, v26
	s_delay_alu instid0(VALU_DEP_1) | instskip(SKIP_1) | instid1(VALU_DEP_2)
	v_cndmask_b32_e32 v23, 0, v23, vcc_lo
	v_cmp_nlt_f32_e32 vcc_lo, 0x42b17218, v22
	v_cndmask_b32_e32 v54, 0x7f800000, v23, vcc_lo
	s_delay_alu instid0(VALU_DEP_1) | instskip(NEXT) | instid1(VALU_DEP_1)
	v_add_f32_e32 v26, 1.0, v54
	v_cvt_f64_f32_e32 v[22:23], v26
	s_delay_alu instid0(VALU_DEP_1) | instskip(SKIP_1) | instid1(VALU_DEP_1)
	v_frexp_exp_i32_f64_e32 v22, v[22:23]
	v_frexp_mant_f32_e32 v23, v26
	v_cmp_gt_f32_e32 vcc_lo, 0x3f2aaaab, v23
	s_delay_alu instid0(VALU_DEP_3) | instskip(SKIP_1) | instid1(VALU_DEP_2)
	v_subrev_co_ci_u32_e64 v38, null, 0, v22, vcc_lo
	v_add_f32_e32 v22, -1.0, v26
	v_sub_nc_u32_e32 v23, 0, v38
	v_cmp_neq_f32_e32 vcc_lo, 0x7f800000, v54
	s_delay_alu instid0(VALU_DEP_3) | instskip(SKIP_1) | instid1(VALU_DEP_4)
	v_sub_f32_e32 v27, v22, v26
	v_sub_f32_e32 v22, v54, v22
	v_ldexp_f32 v26, v26, v23
	s_delay_alu instid0(VALU_DEP_1) | instskip(NEXT) | instid1(VALU_DEP_1)
	v_dual_add_f32 v27, 1.0, v27 :: v_dual_add_f32 v37, -1.0, v26
	v_dual_add_f32 v36, 1.0, v26 :: v_dual_add_f32 v22, v22, v27
	s_delay_alu instid0(VALU_DEP_1) | instskip(NEXT) | instid1(VALU_DEP_2)
	v_add_f32_e32 v27, -1.0, v36
	v_ldexp_f32 v22, v22, v23
	s_delay_alu instid0(VALU_DEP_2) | instskip(NEXT) | instid1(VALU_DEP_1)
	v_dual_sub_f32 v23, v26, v27 :: v_dual_add_f32 v27, 1.0, v37
	v_add_f32_e32 v39, v22, v23
	s_delay_alu instid0(VALU_DEP_2) | instskip(NEXT) | instid1(VALU_DEP_1)
	v_sub_f32_e32 v23, v26, v27
	v_add_f32_e32 v41, v22, v23
	s_delay_alu instid0(VALU_DEP_1) | instskip(NEXT) | instid1(VALU_DEP_1)
	v_dual_add_f32 v40, v36, v39 :: v_dual_add_f32 v23, v37, v41
	v_rcp_f32_e32 v44, v40
	s_delay_alu instid0(VALU_DEP_1) | instskip(NEXT) | instid1(VALU_DEP_1)
	v_dual_sub_f32 v22, v36, v40 :: v_dual_sub_f32 v50, v37, v23
	v_add_f32_e32 v39, v39, v22
	s_delay_alu instid0(TRANS32_DEP_1) | instskip(NEXT) | instid1(VALU_DEP_1)
	v_mul_f32_e32 v45, v23, v44
	v_mul_f32_e32 v26, v40, v45
	s_delay_alu instid0(VALU_DEP_1) | instskip(NEXT) | instid1(VALU_DEP_1)
	v_fma_f32 v36, v45, v40, -v26
	v_fmac_f32_e32 v36, v45, v39
	s_delay_alu instid0(VALU_DEP_1) | instskip(NEXT) | instid1(VALU_DEP_1)
	v_add_f32_e32 v22, v26, v36
	v_dual_sub_f32 v27, v23, v22 :: v_dual_mov_b32 v37, v22
	s_delay_alu instid0(VALU_DEP_1) | instskip(NEXT) | instid1(VALU_DEP_1)
	v_pk_add_f32 v[22:23], v[22:23], v[26:27] neg_lo:[0,1] neg_hi:[0,1]
	v_pk_add_f32 v[22:23], v[22:23], v[36:37] neg_lo:[0,1] neg_hi:[0,1]
	v_add_f32_e32 v26, v41, v50
	s_delay_alu instid0(VALU_DEP_1) | instskip(NEXT) | instid1(VALU_DEP_1)
	v_add_f32_e32 v23, v26, v23
	v_add_f32_e32 v41, v22, v23
	s_delay_alu instid0(VALU_DEP_1) | instskip(NEXT) | instid1(VALU_DEP_1)
	v_add_f32_e32 v23, v27, v41
	v_mul_f32_e32 v50, v44, v23
	s_delay_alu instid0(VALU_DEP_1) | instskip(NEXT) | instid1(VALU_DEP_1)
	v_mul_f32_e32 v36, v40, v50
	v_fma_f32 v26, v50, v40, -v36
	s_delay_alu instid0(VALU_DEP_1) | instskip(NEXT) | instid1(VALU_DEP_1)
	v_fmac_f32_e32 v26, v50, v39
	v_dual_sub_f32 v39, v27, v23 :: v_dual_add_f32 v22, v36, v26
	s_delay_alu instid0(VALU_DEP_1) | instskip(NEXT) | instid1(VALU_DEP_1)
	v_dual_sub_f32 v37, v23, v22 :: v_dual_mov_b32 v27, v22
	v_pk_add_f32 v[22:23], v[22:23], v[36:37] neg_lo:[0,1] neg_hi:[0,1]
	s_delay_alu instid0(VALU_DEP_3) | instskip(NEXT) | instid1(VALU_DEP_2)
	v_add_f32_e32 v36, v41, v39
	v_pk_add_f32 v[22:23], v[22:23], v[26:27] neg_lo:[0,1] neg_hi:[0,1]
	v_cvt_f32_i32_e32 v26, v38
	s_delay_alu instid0(VALU_DEP_2) | instskip(NEXT) | instid1(VALU_DEP_1)
	v_dual_add_f32 v23, v36, v23 :: v_dual_add_f32 v36, v45, v50
	v_dual_add_f32 v22, v22, v23 :: v_dual_sub_f32 v23, v36, v45
	s_delay_alu instid0(VALU_DEP_1) | instskip(NEXT) | instid1(VALU_DEP_1)
	v_dual_add_f32 v22, v37, v22 :: v_dual_sub_f32 v23, v50, v23
	v_mul_f32_e32 v22, v44, v22
	s_delay_alu instid0(VALU_DEP_1) | instskip(NEXT) | instid1(VALU_DEP_1)
	v_dual_add_f32 v39, v23, v22 :: v_dual_mov_b32 v22, 0x3f317218
	v_add_f32_e32 v37, v36, v39
	s_delay_alu instid0(VALU_DEP_1) | instskip(NEXT) | instid1(VALU_DEP_1)
	v_mul_f32_e32 v23, v37, v37
	v_dual_fmaak_f32 v40, s2, v23, 0x3ecc95a3 :: v_dual_mul_f32 v27, v37, v23
	s_delay_alu instid0(VALU_DEP_1) | instskip(NEXT) | instid1(VALU_DEP_1)
	v_fmaak_f32 v23, v23, v40, 0x3f2aaada
	v_pk_mul_f32 v[22:23], v[26:27], v[22:23]
	v_ldexp_f32 v27, v37, 1
	s_delay_alu instid0(VALU_DEP_2) | instskip(NEXT) | instid1(VALU_DEP_1)
	v_fma_f32 v38, 0x3f317218, v26, -v22
	v_fmamk_f32 v26, v26, 0xb102e308, v38
	v_sub_f32_e32 v38, v37, v36
	s_delay_alu instid0(VALU_DEP_2) | instskip(NEXT) | instid1(VALU_DEP_1)
	v_pk_add_f32 v[36:37], v[22:23], v[26:27]
	v_sub_f32_e32 v27, v37, v27
	s_delay_alu instid0(VALU_DEP_1) | instskip(NEXT) | instid1(VALU_DEP_4)
	v_sub_f32_e32 v27, v23, v27
	v_sub_f32_e32 v38, v39, v38
	s_delay_alu instid0(VALU_DEP_1) | instskip(SKIP_2) | instid1(VALU_DEP_3)
	v_ldexp_f32 v39, v38, 1
	v_mov_b32_e32 v38, v22
	v_pk_add_f32 v[22:23], v[36:37], v[22:23] neg_lo:[0,1] neg_hi:[0,1]
	v_dual_add_f32 v39, v39, v27 :: v_dual_mov_b32 v27, v36
	s_delay_alu instid0(VALU_DEP_1) | instskip(NEXT) | instid1(VALU_DEP_1)
	v_pk_add_f32 v[40:41], v[36:37], v[38:39]
	v_dual_mov_b32 v52, v37 :: v_dual_mov_b32 v23, v41
	s_delay_alu instid0(VALU_DEP_1) | instskip(NEXT) | instid1(VALU_DEP_1)
	v_pk_add_f32 v[44:45], v[26:27], v[22:23]
	v_dual_mov_b32 v44, v41 :: v_dual_mov_b32 v38, v45
	v_pk_add_f32 v[22:23], v[26:27], v[22:23] neg_lo:[0,1] neg_hi:[0,1]
	s_delay_alu instid0(VALU_DEP_2) | instskip(SKIP_1) | instid1(VALU_DEP_2)
	v_pk_add_f32 v[50:51], v[38:39], v[36:37] neg_lo:[0,1] neg_hi:[0,1]
	v_dual_mov_b32 v37, v36 :: v_dual_mov_b32 v36, v39
	v_dual_mov_b32 v39, v50 :: v_dual_mov_b32 v53, v50
	s_delay_alu instid0(VALU_DEP_1) | instskip(NEXT) | instid1(VALU_DEP_2)
	v_pk_add_f32 v[26:27], v[40:41], v[38:39] neg_lo:[0,1] neg_hi:[0,1]
	v_pk_add_f32 v[50:51], v[44:45], v[52:53] neg_lo:[0,1] neg_hi:[0,1]
	v_mov_b32_e32 v26, v22
	s_delay_alu instid0(VALU_DEP_2) | instskip(NEXT) | instid1(VALU_DEP_1)
	v_pk_add_f32 v[36:37], v[36:37], v[50:51] neg_lo:[0,1] neg_hi:[0,1]
	v_pk_add_f32 v[26:27], v[26:27], v[36:37]
	s_delay_alu instid0(VALU_DEP_1) | instskip(NEXT) | instid1(VALU_DEP_1)
	v_mov_b32_e32 v40, v27
	v_pk_add_f32 v[40:41], v[26:27], v[40:41]
	s_delay_alu instid0(VALU_DEP_1) | instskip(NEXT) | instid1(VALU_DEP_1)
	v_pk_add_f32 v[38:39], v[38:39], v[40:41]
	v_dual_mov_b32 v23, v45 :: v_dual_mov_b32 v27, v38
	s_delay_alu instid0(VALU_DEP_1) | instskip(NEXT) | instid1(VALU_DEP_1)
	v_pk_add_f32 v[44:45], v[26:27], v[22:23] neg_lo:[0,1] neg_hi:[0,1]
	v_dual_mov_b32 v37, v40 :: v_dual_sub_f32 v23, v26, v44
	s_delay_alu instid0(VALU_DEP_1) | instskip(NEXT) | instid1(VALU_DEP_2)
	v_pk_add_f32 v[26:27], v[36:37], v[44:45] neg_lo:[0,1] neg_hi:[0,1]
	v_sub_f32_e32 v22, v22, v23
	s_delay_alu instid0(VALU_DEP_1) | instskip(NEXT) | instid1(VALU_DEP_1)
	v_add_f32_e32 v22, v26, v22
	v_add_f32_e32 v22, v22, v27
	s_delay_alu instid0(VALU_DEP_1) | instskip(NEXT) | instid1(VALU_DEP_1)
	v_add_f32_e32 v22, v38, v22
	v_cndmask_b32_e32 v22, 0x7f800000, v22, vcc_lo
	v_cmp_gt_f32_e32 vcc_lo, 0x33800000, v54
	s_delay_alu instid0(VALU_DEP_2)
	v_cndmask_b32_e32 v22, v22, v54, vcc_lo
.LBB5_16:
	s_or_b32 exec_lo, exec_lo, s1
	v_add_nc_u64_e32 v[18:19], s[12:13], v[18:19]
	s_delay_alu instid0(VALU_DEP_2)
	v_dual_mul_f32 v26, v22, v15 :: v_dual_mul_f32 v40, v22, v16
	v_dual_mul_f32 v41, v22, v17 :: v_dual_mul_f32 v44, v22, v10
	;; [unrolled: 1-line block ×3, first 2 shown]
	global_load_b32 v18, v[18:19], off
	s_wait_xcnt 0x0
	v_dual_mul_f32 v19, v22, v14 :: v_dual_mov_b32 v23, 0
	v_dual_mul_f32 v73, 0x3fb8aa3b, v40 :: v_dual_mul_f32 v76, 0x3fb8aa3b, v45
	v_dual_mul_f32 v63, v22, v13 :: v_dual_mul_f32 v64, v22, v6
	s_delay_alu instid0(VALU_DEP_3)
	v_dual_mul_f32 v27, 0x3fb8aa3b, v19 :: v_dual_mul_f32 v74, 0x3fb8aa3b, v41
	v_dual_mul_f32 v65, v22, v7 :: v_dual_mul_f32 v66, v22, v8
	;; [unrolled: 1-line block ×5, first 2 shown]
	ds_load_b128 v[2:5], v23 offset:64
	ds_load_b128 v[6:9], v23 offset:80
	;; [unrolled: 1-line block ×4, first 2 shown]
	ds_load_b128 v[36:39], v23
	ds_load_b128 v[50:53], v23 offset:16
	ds_load_b128 v[54:57], v23 offset:32
	;; [unrolled: 1-line block ×3, first 2 shown]
	v_fma_f32 v23, 0x3fb8aa3b, v19, -v27
	v_rndne_f32_e32 v87, v27
	v_fma_f32 v90, 0x3fb8aa3b, v40, -v73
	v_dual_mul_f32 v79, 0x3fb8aa3b, v64 :: v_dual_mul_f32 v82, 0x3fb8aa3b, v67
	v_fma_f32 v88, 0x3fb8aa3b, v26, -v72
	v_rndne_f32_e32 v89, v72
	v_rndne_f32_e32 v97, v76
	v_dual_fmac_f32 v23, 0x32a5705f, v19 :: v_dual_fmac_f32 v90, 0x32a5705f, v40
	v_sub_f32_e32 v27, v27, v87
	s_delay_alu instid0(VALU_DEP_4)
	v_dual_mul_f32 v85, 0x3fb8aa3b, v70 :: v_dual_sub_f32 v72, v72, v89
	v_fma_f32 v96, 0x3fb8aa3b, v45, -v76
	v_fma_f32 v108, 0x3fb8aa3b, v67, -v82
	v_fmac_f32_e32 v88, 0x32a5705f, v26
	v_dual_sub_f32 v76, v76, v97 :: v_dual_add_f32 v23, v27, v23
	v_dual_mul_f32 v75, 0x3fb8aa3b, v44 :: v_dual_mul_f32 v78, 0x3fb8aa3b, v63
	v_dual_mul_f32 v77, 0x3fb8aa3b, v62 :: v_dual_mul_f32 v80, 0x3fb8aa3b, v65
	v_dual_mul_f32 v81, 0x3fb8aa3b, v66 :: v_dual_mul_f32 v84, 0x3fb8aa3b, v69
	v_dual_mul_f32 v83, 0x3fb8aa3b, v68 :: v_dual_mul_f32 v86, 0x3fb8aa3b, v71
	v_dual_fmac_f32 v108, 0x32a5705f, v67 :: v_dual_add_f32 v27, v72, v88
	v_exp_f32_e32 v23, v23
	v_rndne_f32_e32 v91, v73
	v_fma_f32 v92, 0x3fb8aa3b, v41, -v74
	v_rndne_f32_e32 v93, v74
	v_fma_f32 v94, 0x3fb8aa3b, v44, -v75
	;; [unrolled: 2-line block ×7, first 2 shown]
	v_rndne_f32_e32 v107, v81
	v_rndne_f32_e32 v109, v82
	v_fma_f32 v110, 0x3fb8aa3b, v68, -v83
	v_fma_f32 v111, 0x3fb8aa3b, v69, -v84
	v_rndne_f32_e32 v112, v83
	v_fma_f32 v113, 0x3fb8aa3b, v70, -v85
	v_rndne_f32_e32 v114, v84
	v_rndne_f32_e32 v115, v85
	v_fma_f32 v116, 0x3fb8aa3b, v71, -v86
	v_rndne_f32_e32 v117, v86
	v_cvt_i32_f32_e32 v87, v87
	v_exp_f32_e32 v27, v27
	v_dual_fmac_f32 v92, 0x32a5705f, v41 :: v_dual_fmac_f32 v113, 0x32a5705f, v70
	v_dual_fmac_f32 v94, 0x32a5705f, v44 :: v_dual_fmac_f32 v111, 0x32a5705f, v69
	v_dual_fmac_f32 v96, 0x32a5705f, v45 :: v_dual_sub_f32 v73, v73, v91
	v_dual_fmac_f32 v98, 0x32a5705f, v62 :: v_dual_sub_f32 v75, v75, v95
	;; [unrolled: 1-line block ×7, first 2 shown]
	v_cvt_i32_f32_e32 v89, v89
	v_dual_sub_f32 v74, v74, v93 :: v_dual_sub_f32 v84, v84, v114
	v_dual_sub_f32 v78, v78, v101 :: v_dual_add_f32 v72, v73, v90
	s_delay_alu instid0(VALU_DEP_2)
	v_dual_sub_f32 v80, v80, v105 :: v_dual_add_f32 v73, v74, v92
	v_dual_sub_f32 v82, v82, v109 :: v_dual_add_f32 v74, v75, v94
	v_dual_fmac_f32 v116, 0x32a5705f, v71 :: v_dual_add_f32 v75, v76, v96
	v_dual_sub_f32 v86, v86, v117 :: v_dual_add_f32 v76, v77, v98
	v_ldexp_f32 v23, v23, v87
	v_cmp_ngt_f32_e32 vcc_lo, 0xc2ce8ed0, v19
	v_dual_add_f32 v77, v78, v100 :: v_dual_add_f32 v78, v79, v102
	v_dual_add_f32 v79, v80, v104 :: v_dual_add_f32 v80, v81, v106
	;; [unrolled: 1-line block ×4, first 2 shown]
	v_dual_add_f32 v85, v86, v116 :: v_dual_cndmask_b32 v23, 0, v23, vcc_lo
	v_ldexp_f32 v27, v27, v89
	v_cmp_ngt_f32_e32 vcc_lo, 0xc2ce8ed0, v26
	v_exp_f32_e32 v72, v72
	v_cvt_i32_f32_e32 v91, v91
	v_exp_f32_e32 v73, v73
	v_cvt_i32_f32_e32 v93, v93
	v_cndmask_b32_e32 v27, 0, v27, vcc_lo
	v_cmp_nlt_f32_e32 vcc_lo, 0x42b17218, v19
	v_exp_f32_e32 v74, v74
	v_ldexp_f32 v72, v72, v91
	v_cvt_i32_f32_e32 v95, v95
	v_ldexp_f32 v73, v73, v93
	v_exp_f32_e32 v75, v75
	v_cvt_i32_f32_e32 v97, v97
	v_exp_f32_e32 v76, v76
	v_ldexp_f32 v74, v74, v95
	v_exp_f32_e32 v78, v78
	v_cvt_i32_f32_e32 v99, v99
	v_cvt_i32_f32_e32 v103, v103
	v_ldexp_f32 v75, v75, v97
	v_exp_f32_e32 v77, v77
	v_cvt_i32_f32_e32 v101, v101
	v_ldexp_f32 v76, v76, v99
	v_ldexp_f32 v78, v78, v103
	v_exp_f32_e32 v81, v81
	v_cvt_i32_f32_e32 v109, v109
	v_exp_f32_e32 v79, v79
	v_ldexp_f32 v77, v77, v101
	v_cvt_i32_f32_e32 v105, v105
	v_exp_f32_e32 v80, v80
	v_cvt_i32_f32_e32 v107, v107
	v_ldexp_f32 v81, v81, v109
	v_exp_f32_e32 v82, v82
	v_ldexp_f32 v79, v79, v105
	v_cvt_i32_f32_e32 v112, v112
	v_exp_f32_e32 v83, v83
	v_ldexp_f32 v80, v80, v107
	v_cvt_i32_f32_e32 v114, v114
	;; [unrolled: 3-line block ×4, first 2 shown]
	s_add_nc_u64 s[2:3], s[18:19], s[4:5]
	v_ldexp_f32 v84, v84, v115
	v_mad_nc_i64_i32 v[0:1], s0, 12, v[0:1]
	s_mul_i32 s0, s21, s34
	v_ldexp_f32 v85, v85, v117
	s_mov_b32 s1, 0
	s_delay_alu instid0(SALU_CYCLE_1) | instskip(NEXT) | instid1(SALU_CYCLE_1)
	s_add_nc_u64 s[0:1], s[2:3], s[0:1]
	s_add_nc_u64 s[0:1], s[0:1], s[10:11]
	s_wait_loadcnt 0x0
	v_mul_f32_e32 v18, v22, v18
	v_cndmask_b32_e32 v22, 0x7f800000, v23, vcc_lo
	v_cmp_nlt_f32_e32 vcc_lo, 0x42b17218, v26
	v_cndmask_b32_e32 v23, 0x7f800000, v27, vcc_lo
	v_cmp_ngt_f32_e32 vcc_lo, 0xc2ce8ed0, v40
	s_wait_dscnt 0x3
	v_pk_mul_f32 v[26:27], v[18:19], v[36:37] op_sel_hi:[0,1]
	v_cndmask_b32_e32 v19, 0, v72, vcc_lo
	v_cmp_ngt_f32_e32 vcc_lo, 0xc2ce8ed0, v41
	s_delay_alu instid0(VALU_DEP_3) | instskip(SKIP_2) | instid1(VALU_DEP_3)
	v_pk_fma_f32 v[36:37], v[48:49], v[22:23], v[26:27]
	v_cndmask_b32_e32 v72, 0, v73, vcc_lo
	v_cmp_nlt_f32_e32 vcc_lo, 0x42b17218, v40
	v_fma_f32 v40, v2, v36, 0
	v_pk_mul_f32 v[26:27], v[18:19], v[38:39] op_sel_hi:[0,1]
	v_cndmask_b32_e32 v22, 0x7f800000, v19, vcc_lo
	v_cmp_nlt_f32_e32 vcc_lo, 0x42b17218, v41
	s_delay_alu instid0(VALU_DEP_4) | instskip(SKIP_1) | instid1(VALU_DEP_2)
	v_dual_fmac_f32 v40, v3, v37 :: v_dual_cndmask_b32 v23, 0x7f800000, v72
	v_cmp_ngt_f32_e32 vcc_lo, 0xc2ce8ed0, v44
	v_pk_fma_f32 v[38:39], v[46:47], v[22:23], v[26:27]
	v_cndmask_b32_e32 v2, 0, v74, vcc_lo
	v_cmp_ngt_f32_e32 vcc_lo, 0xc2ce8ed0, v45
	s_delay_alu instid0(VALU_DEP_3) | instskip(SKIP_1) | instid1(VALU_DEP_2)
	v_dual_fmac_f32 v40, v4, v38 :: v_dual_cndmask_b32 v19, 0, v75
	v_cmp_nlt_f32_e32 vcc_lo, 0x42b17218, v44
	v_fmac_f32_e32 v40, v5, v39
	s_wait_dscnt 0x2
	s_delay_alu instid0(VALU_DEP_3) | instskip(SKIP_4) | instid1(VALU_DEP_2)
	v_pk_mul_f32 v[22:23], v[18:19], v[50:51] op_sel_hi:[0,1]
	v_cndmask_b32_e32 v2, 0x7f800000, v2, vcc_lo
	v_cmp_nlt_f32_e32 vcc_lo, 0x42b17218, v45
	v_cndmask_b32_e32 v3, 0x7f800000, v19, vcc_lo
	v_cmp_ngt_f32_e32 vcc_lo, 0xc2ce8ed0, v62
	v_pk_fma_f32 v[2:3], v[32:33], v[2:3], v[22:23]
	v_cndmask_b32_e32 v4, 0, v76, vcc_lo
	v_cmp_ngt_f32_e32 vcc_lo, 0xc2ce8ed0, v63
	s_delay_alu instid0(VALU_DEP_3) | instskip(SKIP_1) | instid1(VALU_DEP_2)
	v_dual_fmac_f32 v40, v6, v2 :: v_dual_cndmask_b32 v19, 0, v77
	v_cmp_nlt_f32_e32 vcc_lo, 0x42b17218, v62
	v_fmac_f32_e32 v40, v7, v3
	s_delay_alu instid0(VALU_DEP_3) | instskip(SKIP_4) | instid1(VALU_DEP_2)
	v_pk_mul_f32 v[22:23], v[18:19], v[52:53] op_sel_hi:[0,1]
	v_cndmask_b32_e32 v4, 0x7f800000, v4, vcc_lo
	v_cmp_nlt_f32_e32 vcc_lo, 0x42b17218, v63
	v_cndmask_b32_e32 v5, 0x7f800000, v19, vcc_lo
	v_cmp_ngt_f32_e32 vcc_lo, 0xc2ce8ed0, v64
	v_pk_fma_f32 v[4:5], v[30:31], v[4:5], v[22:23]
	v_cndmask_b32_e32 v6, 0, v78, vcc_lo
	v_cmp_ngt_f32_e32 vcc_lo, 0xc2ce8ed0, v65
	s_delay_alu instid0(VALU_DEP_3) | instskip(SKIP_1) | instid1(VALU_DEP_2)
	v_dual_fmac_f32 v40, v8, v4 :: v_dual_cndmask_b32 v19, 0, v79
	v_cmp_nlt_f32_e32 vcc_lo, 0x42b17218, v64
	v_fmac_f32_e32 v40, v9, v5
	v_cndmask_b32_e32 v6, 0x7f800000, v6, vcc_lo
	v_cmp_nlt_f32_e32 vcc_lo, 0x42b17218, v65
	v_cndmask_b32_e32 v7, 0x7f800000, v19, vcc_lo
	v_cmp_ngt_f32_e32 vcc_lo, 0xc2ce8ed0, v66
	v_cndmask_b32_e32 v8, 0, v80, vcc_lo
	v_cmp_ngt_f32_e32 vcc_lo, 0xc2ce8ed0, v67
	s_wait_dscnt 0x1
	v_pk_mul_f32 v[22:23], v[18:19], v[54:55] op_sel_hi:[0,1]
	v_cndmask_b32_e32 v19, 0, v81, vcc_lo
	v_cmp_nlt_f32_e32 vcc_lo, 0x42b17218, v66
	s_delay_alu instid0(VALU_DEP_3) | instskip(NEXT) | instid1(VALU_DEP_3)
	v_pk_fma_f32 v[6:7], v[28:29], v[6:7], v[22:23]
	v_pk_mul_f32 v[22:23], v[18:19], v[56:57] op_sel_hi:[0,1]
	v_cndmask_b32_e32 v8, 0x7f800000, v8, vcc_lo
	v_cmp_nlt_f32_e32 vcc_lo, 0x42b17218, v67
	s_delay_alu instid0(VALU_DEP_4) | instskip(SKIP_1) | instid1(VALU_DEP_2)
	v_dual_fmac_f32 v40, v10, v6 :: v_dual_cndmask_b32 v9, 0x7f800000, v19
	v_cmp_ngt_f32_e32 vcc_lo, 0xc2ce8ed0, v68
	v_fmac_f32_e32 v40, v11, v7
	s_delay_alu instid0(VALU_DEP_3) | instskip(SKIP_2) | instid1(VALU_DEP_3)
	v_pk_fma_f32 v[8:9], v[42:43], v[8:9], v[22:23]
	v_cndmask_b32_e32 v10, 0, v82, vcc_lo
	v_cmp_ngt_f32_e32 vcc_lo, 0xc2ce8ed0, v69
	v_dual_fmac_f32 v40, v12, v8 :: v_dual_cndmask_b32 v19, 0, v83
	v_cmp_nlt_f32_e32 vcc_lo, 0x42b17218, v68
	s_delay_alu instid0(VALU_DEP_2) | instskip(SKIP_1) | instid1(VALU_DEP_3)
	v_fmac_f32_e32 v40, v13, v9
	s_wait_dscnt 0x0
	v_pk_mul_f32 v[22:23], v[18:19], v[58:59] op_sel_hi:[0,1]
	v_cndmask_b32_e32 v10, 0x7f800000, v10, vcc_lo
	v_cmp_nlt_f32_e32 vcc_lo, 0x42b17218, v69
	v_cndmask_b32_e32 v11, 0x7f800000, v19, vcc_lo
	v_cmp_ngt_f32_e32 vcc_lo, 0xc2ce8ed0, v70
	s_delay_alu instid0(VALU_DEP_2) | instskip(SKIP_2) | instid1(VALU_DEP_3)
	v_pk_fma_f32 v[10:11], v[24:25], v[10:11], v[22:23]
	v_cndmask_b32_e32 v12, 0, v84, vcc_lo
	v_cmp_ngt_f32_e32 vcc_lo, 0xc2ce8ed0, v71
	v_dual_fmac_f32 v40, v14, v10 :: v_dual_cndmask_b32 v19, 0, v85
	v_cmp_nlt_f32_e32 vcc_lo, 0x42b17218, v70
	s_delay_alu instid0(VALU_DEP_2)
	v_fmac_f32_e32 v40, v15, v11
	v_lshl_add_u64 v[14:15], v[34:35], 2, s[0:1]
	v_cndmask_b32_e32 v12, 0x7f800000, v12, vcc_lo
	v_cmp_nlt_f32_e32 vcc_lo, 0x42b17218, v71
	v_cndmask_b32_e32 v13, 0x7f800000, v19, vcc_lo
	v_pk_mul_f32 v[18:19], v[18:19], v[60:61] op_sel_hi:[0,1]
	s_delay_alu instid0(VALU_DEP_1) | instskip(NEXT) | instid1(VALU_DEP_1)
	v_pk_fma_f32 v[12:13], v[20:21], v[12:13], v[18:19]
	v_fmac_f32_e32 v40, v16, v12
	s_delay_alu instid0(VALU_DEP_1)
	v_fmac_f32_e32 v40, v17, v13
	global_store_b32 v[0:1], v40, off
	s_wait_storecnt 0x0
	s_barrier_signal -1
	s_barrier_wait -1
	s_clause 0x3
	global_store_b128 v[14:15], v[36:39], off
	global_store_b128 v[14:15], v[2:5], off offset:16
	global_store_b128 v[14:15], v[6:9], off offset:32
	;; [unrolled: 1-line block ×3, first 2 shown]
	s_sendmsg sendmsg(MSG_DEALLOC_VGPRS)
	s_endpgm
	.section	.rodata,"a",@progbits
	.p2align	6, 0x0
	.amdhsa_kernel _Z12ssm_scan_f32ILm128ELm16ELm4EEvPKfS1_S1_S1_S1_S1_PKiPfiiiiiiiiiiilll
		.amdhsa_group_segment_fixed_size 128
		.amdhsa_private_segment_fixed_size 0
		.amdhsa_kernarg_size 136
		.amdhsa_user_sgpr_count 2
		.amdhsa_user_sgpr_dispatch_ptr 0
		.amdhsa_user_sgpr_queue_ptr 0
		.amdhsa_user_sgpr_kernarg_segment_ptr 1
		.amdhsa_user_sgpr_dispatch_id 0
		.amdhsa_user_sgpr_kernarg_preload_length 0
		.amdhsa_user_sgpr_kernarg_preload_offset 0
		.amdhsa_user_sgpr_private_segment_size 0
		.amdhsa_wavefront_size32 1
		.amdhsa_uses_dynamic_stack 0
		.amdhsa_enable_private_segment 0
		.amdhsa_system_sgpr_workgroup_id_x 1
		.amdhsa_system_sgpr_workgroup_id_y 1
		.amdhsa_system_sgpr_workgroup_id_z 0
		.amdhsa_system_sgpr_workgroup_info 0
		.amdhsa_system_vgpr_workitem_id 0
		.amdhsa_next_free_vgpr 144
		.amdhsa_next_free_sgpr 36
		.amdhsa_named_barrier_count 0
		.amdhsa_reserve_vcc 1
		.amdhsa_float_round_mode_32 0
		.amdhsa_float_round_mode_16_64 0
		.amdhsa_float_denorm_mode_32 3
		.amdhsa_float_denorm_mode_16_64 3
		.amdhsa_fp16_overflow 0
		.amdhsa_memory_ordered 1
		.amdhsa_forward_progress 1
		.amdhsa_inst_pref_size 103
		.amdhsa_round_robin_scheduling 0
		.amdhsa_exception_fp_ieee_invalid_op 0
		.amdhsa_exception_fp_denorm_src 0
		.amdhsa_exception_fp_ieee_div_zero 0
		.amdhsa_exception_fp_ieee_overflow 0
		.amdhsa_exception_fp_ieee_underflow 0
		.amdhsa_exception_fp_ieee_inexact 0
		.amdhsa_exception_int_div_zero 0
	.end_amdhsa_kernel
	.section	.text._Z12ssm_scan_f32ILm128ELm16ELm4EEvPKfS1_S1_S1_S1_S1_PKiPfiiiiiiiiiiilll,"axG",@progbits,_Z12ssm_scan_f32ILm128ELm16ELm4EEvPKfS1_S1_S1_S1_S1_PKiPfiiiiiiiiiiilll,comdat
.Lfunc_end5:
	.size	_Z12ssm_scan_f32ILm128ELm16ELm4EEvPKfS1_S1_S1_S1_S1_PKiPfiiiiiiiiiiilll, .Lfunc_end5-_Z12ssm_scan_f32ILm128ELm16ELm4EEvPKfS1_S1_S1_S1_S1_PKiPfiiiiiiiiiiilll
                                        ; -- End function
	.set _Z12ssm_scan_f32ILm128ELm16ELm4EEvPKfS1_S1_S1_S1_S1_PKiPfiiiiiiiiiiilll.num_vgpr, 144
	.set _Z12ssm_scan_f32ILm128ELm16ELm4EEvPKfS1_S1_S1_S1_S1_PKiPfiiiiiiiiiiilll.num_agpr, 0
	.set _Z12ssm_scan_f32ILm128ELm16ELm4EEvPKfS1_S1_S1_S1_S1_PKiPfiiiiiiiiiiilll.numbered_sgpr, 36
	.set _Z12ssm_scan_f32ILm128ELm16ELm4EEvPKfS1_S1_S1_S1_S1_PKiPfiiiiiiiiiiilll.num_named_barrier, 0
	.set _Z12ssm_scan_f32ILm128ELm16ELm4EEvPKfS1_S1_S1_S1_S1_PKiPfiiiiiiiiiiilll.private_seg_size, 0
	.set _Z12ssm_scan_f32ILm128ELm16ELm4EEvPKfS1_S1_S1_S1_S1_PKiPfiiiiiiiiiiilll.uses_vcc, 1
	.set _Z12ssm_scan_f32ILm128ELm16ELm4EEvPKfS1_S1_S1_S1_S1_PKiPfiiiiiiiiiiilll.uses_flat_scratch, 0
	.set _Z12ssm_scan_f32ILm128ELm16ELm4EEvPKfS1_S1_S1_S1_S1_PKiPfiiiiiiiiiiilll.has_dyn_sized_stack, 0
	.set _Z12ssm_scan_f32ILm128ELm16ELm4EEvPKfS1_S1_S1_S1_S1_PKiPfiiiiiiiiiiilll.has_recursion, 0
	.set _Z12ssm_scan_f32ILm128ELm16ELm4EEvPKfS1_S1_S1_S1_S1_PKiPfiiiiiiiiiiilll.has_indirect_call, 0
	.section	.AMDGPU.csdata,"",@progbits
; Kernel info:
; codeLenInByte = 13116
; TotalNumSgprs: 38
; NumVgprs: 144
; ScratchSize: 0
; MemoryBound: 0
; FloatMode: 240
; IeeeMode: 1
; LDSByteSize: 128 bytes/workgroup (compile time only)
; SGPRBlocks: 0
; VGPRBlocks: 8
; NumSGPRsForWavesPerEU: 38
; NumVGPRsForWavesPerEU: 144
; NamedBarCnt: 0
; Occupancy: 7
; WaveLimiterHint : 1
; COMPUTE_PGM_RSRC2:SCRATCH_EN: 0
; COMPUTE_PGM_RSRC2:USER_SGPR: 2
; COMPUTE_PGM_RSRC2:TRAP_HANDLER: 0
; COMPUTE_PGM_RSRC2:TGID_X_EN: 1
; COMPUTE_PGM_RSRC2:TGID_Y_EN: 1
; COMPUTE_PGM_RSRC2:TGID_Z_EN: 0
; COMPUTE_PGM_RSRC2:TIDIG_COMP_CNT: 0
	.section	.text._Z12ssm_scan_f32ILm128ELm16ELm5EEvPKfS1_S1_S1_S1_S1_PKiPfiiiiiiiiiiilll,"axG",@progbits,_Z12ssm_scan_f32ILm128ELm16ELm5EEvPKfS1_S1_S1_S1_S1_PKiPfiiiiiiiiiiilll,comdat
	.protected	_Z12ssm_scan_f32ILm128ELm16ELm5EEvPKfS1_S1_S1_S1_S1_PKiPfiiiiiiiiiiilll ; -- Begin function _Z12ssm_scan_f32ILm128ELm16ELm5EEvPKfS1_S1_S1_S1_S1_PKiPfiiiiiiiiiiilll
	.globl	_Z12ssm_scan_f32ILm128ELm16ELm5EEvPKfS1_S1_S1_S1_S1_PKiPfiiiiiiiiiiilll
	.p2align	8
	.type	_Z12ssm_scan_f32ILm128ELm16ELm5EEvPKfS1_S1_S1_S1_S1_PKiPfiiiiiiiiiiilll,@function
_Z12ssm_scan_f32ILm128ELm16ELm5EEvPKfS1_S1_S1_S1_S1_PKiPfiiiiiiiiiiilll: ; @_Z12ssm_scan_f32ILm128ELm16ELm5EEvPKfS1_S1_S1_S1_S1_PKiPfiiiiiiiiiiilll
; %bb.0:
	s_clause 0x1
	s_load_b512 s[4:19], s[0:1], 0x0
	s_load_b256 s[20:27], s[0:1], 0x40
	s_bfe_u32 s3, ttmp6, 0x4000c
	s_bfe_u32 s28, ttmp6, 0x40010
	s_add_co_i32 s3, s3, 1
	s_add_co_i32 s28, s28, 1
	s_and_b32 s2, ttmp6, 15
	s_bfe_u32 s29, ttmp6, 0x40004
	s_mul_i32 s3, ttmp9, s3
	s_mul_i32 s28, ttmp7, s28
	s_getreg_b32 s30, hwreg(HW_REG_IB_STS2, 6, 4)
	s_add_co_i32 s2, s2, s3
	s_add_co_i32 s29, s29, s28
	s_cmp_eq_u32 s30, 0
	s_mov_b32 s35, 0
	s_cselect_b32 s34, ttmp9, s2
	s_cselect_b32 s2, ttmp7, s29
	v_mov_b32_e32 v35, 0
	v_cmp_gt_u32_e32 vcc_lo, 16, v0
	s_wait_kmcnt 0x0
	s_load_b32 s30, s[16:17], s34 offset:0x0 scale_offset
	s_ashr_i32 s3, s26, 2
	s_ashr_i32 s29, s26, 31
	v_mul_lo_u32 v34, s3, v0
	s_mov_b32 s3, s35
	s_mov_b32 s28, s26
	s_wait_xcnt 0x0
	s_lshl_b64 s[16:17], s[2:3], 7
	s_ashr_i32 s26, s20, 2
	s_mul_u64 s[28:29], s[16:17], s[28:29]
	s_delay_alu instid0(SALU_CYCLE_1)
	s_add_nc_u64 s[10:11], s[10:11], s[28:29]
	s_delay_alu instid0(VALU_DEP_1) | instid1(SALU_CYCLE_1)
	v_lshl_add_u64 v[36:37], v[34:35], 2, s[10:11]
	v_mul_lo_u32 v34, s26, v0
	s_ashr_i32 s11, s20, 31
	s_mov_b32 s10, s20
	s_delay_alu instid0(SALU_CYCLE_1) | instskip(SKIP_4) | instid1(SALU_CYCLE_1)
	s_mul_u64 s[10:11], s[16:17], s[10:11]
	s_wait_kmcnt 0x0
	s_mul_i32 s28, s30, s21
	s_mov_b32 s17, s35
	s_ashr_i32 s29, s28, 31
	s_add_nc_u64 s[4:5], s[4:5], s[28:29]
	s_load_b96 s[28:30], s[0:1], 0x60
	s_add_nc_u64 s[4:5], s[4:5], s[10:11]
	s_delay_alu instid0(SALU_CYCLE_1)
	v_lshl_add_u64 v[38:39], v[34:35], 2, s[4:5]
	s_clause 0x3
	global_load_b128 v[2:5], v[36:37], off offset:48
	global_load_b128 v[6:9], v[36:37], off offset:32
	;; [unrolled: 1-line block ×3, first 2 shown]
	global_load_b128 v[14:17], v[36:37], off
	s_clause 0x3
	global_load_b128 v[18:21], v[38:39], off offset:48
	global_load_b128 v[22:25], v[38:39], off offset:32
	;; [unrolled: 1-line block ×3, first 2 shown]
	global_load_b128 v[30:33], v[38:39], off
	s_wait_xcnt 0x4
	v_dual_mov_b32 v37, v35 :: v_dual_lshlrev_b32 v36, 2, v0
	s_mov_b32 s5, s35
	s_delay_alu instid0(VALU_DEP_1)
	v_add_nc_u32_e32 v54, 64, v36
	s_wait_kmcnt 0x0
	s_mul_i32 s4, s28, s34
	s_mul_i32 s16, s30, s34
	s_add_nc_u64 s[4:5], s[12:13], s[4:5]
	s_add_nc_u64 s[12:13], s[14:15], s[16:17]
	v_add_nc_u64_e32 v[40:41], s[4:5], v[36:37]
	s_wait_xcnt 0x0
	v_add_nc_u64_e32 v[38:39], s[12:13], v[36:37]
	s_and_saveexec_b32 s4, vcc_lo
	s_cbranch_execz .LBB6_2
; %bb.1:
	global_load_b32 v1, v[40:41], off
	global_load_b32 v42, v[38:39], off
	s_wait_loadcnt 0x1
	ds_store_b32 v36, v1
	s_wait_loadcnt 0x0
	ds_store_b32 v54, v42
.LBB6_2:
	s_or_b32 exec_lo, exec_lo, s4
	s_mul_i32 s4, s25, s34
	s_mov_b32 s5, s35
	s_lshl_b64 s[12:13], s[2:3], 9
	s_add_nc_u64 s[2:3], s[8:9], s[4:5]
	s_wait_loadcnt_dscnt 0x0
	s_add_nc_u64 s[4:5], s[2:3], s[12:13]
	s_barrier_signal -1
	s_barrier_wait -1
	global_load_b32 v1, v0, s[4:5] scale_offset
	s_mov_b32 s3, exec_lo
	s_wait_loadcnt 0x0
	v_cmpx_ge_f32_e32 0x41a00000, v1
	s_cbranch_execz .LBB6_4
; %bb.3:
	v_mul_f32_e32 v42, 0x3fb8aa3b, v1
	v_cmp_ngt_f32_e64 s2, 0xc2ce8ed0, v1
	s_delay_alu instid0(VALU_DEP_2) | instskip(SKIP_1) | instid1(VALU_DEP_2)
	v_rndne_f32_e32 v43, v42
	v_fma_f32 v44, 0x3fb8aa3b, v1, -v42
	v_sub_f32_e32 v42, v42, v43
	s_delay_alu instid0(VALU_DEP_2) | instskip(SKIP_1) | instid1(VALU_DEP_2)
	v_fmamk_f32 v44, v1, 0x32a5705f, v44
	v_cvt_i32_f32_e32 v43, v43
	v_add_f32_e32 v42, v42, v44
	s_delay_alu instid0(VALU_DEP_1) | instskip(SKIP_1) | instid1(TRANS32_DEP_1)
	v_exp_f32_e32 v42, v42
	v_nop
	v_ldexp_f32 v42, v42, v43
	s_delay_alu instid0(VALU_DEP_1) | instskip(SKIP_1) | instid1(VALU_DEP_1)
	v_cndmask_b32_e64 v42, 0, v42, s2
	v_cmp_nlt_f32_e64 s2, 0x42b17218, v1
	v_cndmask_b32_e64 v55, 0x7f800000, v42, s2
	s_delay_alu instid0(VALU_DEP_1) | instskip(NEXT) | instid1(VALU_DEP_1)
	v_add_f32_e32 v1, 1.0, v55
	v_cvt_f64_f32_e32 v[42:43], v1
	s_delay_alu instid0(VALU_DEP_1) | instskip(SKIP_1) | instid1(VALU_DEP_1)
	v_frexp_exp_i32_f64_e32 v42, v[42:43]
	v_frexp_mant_f32_e32 v43, v1
	v_cmp_gt_f32_e64 s2, 0x3f2aaaab, v43
	s_delay_alu instid0(VALU_DEP_1) | instskip(SKIP_2) | instid1(VALU_DEP_1)
	v_subrev_co_ci_u32_e64 v48, null, 0, v42, s2
	v_add_f32_e32 v42, -1.0, v1
	s_mov_b32 s2, 0x3e9b6dac
	v_dual_sub_f32 v44, v42, v1 :: v_dual_sub_nc_u32 v43, 0, v48
	s_delay_alu instid0(VALU_DEP_1) | instskip(NEXT) | instid1(VALU_DEP_1)
	v_ldexp_f32 v1, v1, v43
	v_dual_add_f32 v45, 1.0, v1 :: v_dual_add_f32 v47, -1.0, v1
	s_delay_alu instid0(VALU_DEP_3) | instskip(NEXT) | instid1(VALU_DEP_1)
	v_dual_sub_f32 v42, v55, v42 :: v_dual_add_f32 v44, 1.0, v44
	v_dual_add_f32 v42, v42, v44 :: v_dual_add_f32 v44, -1.0, v45
	s_delay_alu instid0(VALU_DEP_1) | instskip(NEXT) | instid1(VALU_DEP_2)
	v_ldexp_f32 v42, v42, v43
	v_sub_f32_e32 v43, v1, v44
	s_delay_alu instid0(VALU_DEP_1) | instskip(NEXT) | instid1(VALU_DEP_1)
	v_add_f32_e32 v46, v42, v43
	v_dual_add_f32 v44, 1.0, v47 :: v_dual_add_f32 v49, v45, v46
	s_delay_alu instid0(VALU_DEP_1) | instskip(NEXT) | instid1(VALU_DEP_2)
	v_sub_f32_e32 v1, v1, v44
	v_rcp_f32_e32 v50, v49
	s_delay_alu instid0(VALU_DEP_1) | instskip(NEXT) | instid1(VALU_DEP_1)
	v_add_f32_e32 v1, v42, v1
	v_add_f32_e32 v43, v47, v1
	s_delay_alu instid0(TRANS32_DEP_1) | instid1(VALU_DEP_1)
	v_mul_f32_e32 v51, v43, v50
	s_delay_alu instid0(VALU_DEP_1) | instskip(SKIP_1) | instid1(VALU_DEP_1)
	v_mul_f32_e32 v44, v49, v51
	v_dual_sub_f32 v42, v45, v49 :: v_dual_sub_f32 v53, v47, v43
	v_dual_add_f32 v52, v46, v42 :: v_dual_fma_f32 v46, v51, v49, -v44
	s_delay_alu instid0(VALU_DEP_1) | instskip(NEXT) | instid1(VALU_DEP_1)
	v_dual_add_f32 v1, v1, v53 :: v_dual_fmac_f32 v46, v51, v52
	v_add_f32_e32 v42, v44, v46
	s_delay_alu instid0(VALU_DEP_1) | instskip(NEXT) | instid1(VALU_DEP_1)
	v_dual_sub_f32 v45, v43, v42 :: v_dual_mov_b32 v47, v42
	v_pk_add_f32 v[42:43], v[42:43], v[44:45] neg_lo:[0,1] neg_hi:[0,1]
	s_delay_alu instid0(VALU_DEP_1) | instskip(NEXT) | instid1(VALU_DEP_1)
	v_pk_add_f32 v[42:43], v[42:43], v[46:47] neg_lo:[0,1] neg_hi:[0,1]
	v_add_f32_e32 v1, v1, v43
	s_delay_alu instid0(VALU_DEP_1) | instskip(NEXT) | instid1(VALU_DEP_1)
	v_add_f32_e32 v1, v42, v1
	v_add_f32_e32 v43, v45, v1
	s_delay_alu instid0(VALU_DEP_1) | instskip(NEXT) | instid1(VALU_DEP_1)
	v_mul_f32_e32 v53, v50, v43
	v_mul_f32_e32 v46, v49, v53
	s_delay_alu instid0(VALU_DEP_1) | instskip(SKIP_1) | instid1(VALU_DEP_2)
	v_fma_f32 v44, v53, v49, -v46
	v_sub_f32_e32 v49, v45, v43
	v_fmac_f32_e32 v44, v53, v52
	s_delay_alu instid0(VALU_DEP_1) | instskip(NEXT) | instid1(VALU_DEP_1)
	v_add_f32_e32 v42, v46, v44
	v_dual_mov_b32 v45, v42 :: v_dual_sub_f32 v47, v43, v42
	s_delay_alu instid0(VALU_DEP_1) | instskip(SKIP_2) | instid1(VALU_DEP_3)
	v_pk_add_f32 v[42:43], v[42:43], v[46:47] neg_lo:[0,1] neg_hi:[0,1]
	v_add_f32_e32 v46, v51, v53
	v_add_f32_e32 v1, v1, v49
	v_pk_add_f32 v[42:43], v[42:43], v[44:45] neg_lo:[0,1] neg_hi:[0,1]
	v_cvt_f32_i32_e32 v44, v48
	s_delay_alu instid0(VALU_DEP_2) | instskip(NEXT) | instid1(VALU_DEP_1)
	v_add_f32_e32 v1, v1, v43
	v_add_f32_e32 v1, v42, v1
	v_sub_f32_e32 v42, v46, v51
	s_delay_alu instid0(VALU_DEP_1) | instskip(NEXT) | instid1(VALU_DEP_1)
	v_dual_sub_f32 v42, v53, v42 :: v_dual_add_f32 v1, v47, v1
	v_mul_f32_e32 v1, v50, v1
	s_delay_alu instid0(VALU_DEP_1) | instskip(NEXT) | instid1(VALU_DEP_1)
	v_dual_add_f32 v1, v42, v1 :: v_dual_mov_b32 v42, 0x3f317218
	v_add_f32_e32 v47, v46, v1
	s_delay_alu instid0(VALU_DEP_1) | instskip(NEXT) | instid1(VALU_DEP_1)
	v_mul_f32_e32 v43, v47, v47
	v_fmaak_f32 v49, s2, v43, 0x3ecc95a3
	v_mul_f32_e32 v45, v47, v43
	v_cmp_neq_f32_e64 s2, 0x7f800000, v55
	s_delay_alu instid0(VALU_DEP_3) | instskip(NEXT) | instid1(VALU_DEP_1)
	v_fmaak_f32 v43, v43, v49, 0x3f2aaada
	v_pk_mul_f32 v[42:43], v[44:45], v[42:43]
	s_delay_alu instid0(VALU_DEP_1) | instskip(NEXT) | instid1(VALU_DEP_1)
	v_fma_f32 v48, 0x3f317218, v44, -v42
	v_fmamk_f32 v44, v44, 0xb102e308, v48
	v_sub_f32_e32 v48, v47, v46
	s_delay_alu instid0(VALU_DEP_1) | instskip(SKIP_2) | instid1(VALU_DEP_3)
	v_sub_f32_e32 v1, v1, v48
	v_ldexp_f32 v45, v47, 1
	v_mov_b32_e32 v48, v42
	v_ldexp_f32 v1, v1, 1
	s_delay_alu instid0(VALU_DEP_3) | instskip(NEXT) | instid1(VALU_DEP_1)
	v_pk_add_f32 v[46:47], v[42:43], v[44:45]
	v_dual_sub_f32 v45, v47, v45 :: v_dual_mov_b32 v58, v47
	s_delay_alu instid0(VALU_DEP_1) | instskip(NEXT) | instid1(VALU_DEP_3)
	v_sub_f32_e32 v45, v43, v45
	v_pk_add_f32 v[42:43], v[46:47], v[42:43] neg_lo:[0,1] neg_hi:[0,1]
	s_delay_alu instid0(VALU_DEP_2) | instskip(NEXT) | instid1(VALU_DEP_1)
	v_dual_add_f32 v49, v1, v45 :: v_dual_mov_b32 v45, v46
	v_pk_add_f32 v[50:51], v[46:47], v[48:49]
	s_delay_alu instid0(VALU_DEP_1) | instskip(NEXT) | instid1(VALU_DEP_1)
	v_mov_b32_e32 v43, v51
	v_pk_add_f32 v[52:53], v[44:45], v[42:43]
	v_mov_b32_e32 v52, v51
	v_pk_add_f32 v[42:43], v[44:45], v[42:43] neg_lo:[0,1] neg_hi:[0,1]
	s_delay_alu instid0(VALU_DEP_3) | instskip(NEXT) | instid1(VALU_DEP_1)
	v_dual_mov_b32 v48, v53 :: v_dual_mov_b32 v43, v53
	v_pk_add_f32 v[56:57], v[48:49], v[46:47] neg_lo:[0,1] neg_hi:[0,1]
	v_dual_mov_b32 v47, v46 :: v_dual_mov_b32 v46, v49
	s_delay_alu instid0(VALU_DEP_2) | instskip(NEXT) | instid1(VALU_DEP_1)
	v_dual_mov_b32 v59, v56 :: v_dual_mov_b32 v1, v56
	v_pk_add_f32 v[56:57], v[52:53], v[58:59] neg_lo:[0,1] neg_hi:[0,1]
	s_delay_alu instid0(VALU_DEP_2) | instskip(SKIP_1) | instid1(VALU_DEP_3)
	v_pk_add_f32 v[44:45], v[50:51], v[0:1] neg_lo:[0,1] neg_hi:[0,1]
	v_mov_b32_e32 v44, v42
	v_pk_add_f32 v[46:47], v[46:47], v[56:57] neg_lo:[0,1] neg_hi:[0,1]
	s_delay_alu instid0(VALU_DEP_1) | instskip(NEXT) | instid1(VALU_DEP_1)
	v_pk_add_f32 v[44:45], v[44:45], v[46:47]
	v_mov_b32_e32 v50, v45
	s_delay_alu instid0(VALU_DEP_1) | instskip(NEXT) | instid1(VALU_DEP_1)
	v_pk_add_f32 v[50:51], v[44:45], v[50:51]
	v_pk_add_f32 v[48:49], v[48:49], v[50:51]
	s_delay_alu instid0(VALU_DEP_1) | instskip(NEXT) | instid1(VALU_DEP_1)
	v_dual_mov_b32 v47, v50 :: v_dual_mov_b32 v45, v48
	v_pk_add_f32 v[52:53], v[44:45], v[42:43] neg_lo:[0,1] neg_hi:[0,1]
	s_delay_alu instid0(VALU_DEP_1) | instskip(NEXT) | instid1(VALU_DEP_2)
	v_sub_f32_e32 v1, v44, v52
	v_pk_add_f32 v[44:45], v[46:47], v[52:53] neg_lo:[0,1] neg_hi:[0,1]
	s_delay_alu instid0(VALU_DEP_2) | instskip(NEXT) | instid1(VALU_DEP_1)
	v_sub_f32_e32 v1, v42, v1
	v_add_f32_e32 v1, v44, v1
	s_delay_alu instid0(VALU_DEP_1) | instskip(NEXT) | instid1(VALU_DEP_1)
	v_add_f32_e32 v1, v1, v45
	v_add_f32_e32 v1, v48, v1
	s_delay_alu instid0(VALU_DEP_1) | instskip(SKIP_1) | instid1(VALU_DEP_1)
	v_cndmask_b32_e64 v1, 0x7f800000, v1, s2
	v_cmp_gt_f32_e64 s2, 0x33800000, v55
	v_cndmask_b32_e64 v1, v1, v55, s2
.LBB6_4:
	s_or_b32 exec_lo, exec_lo, s3
	s_mul_i32 s2, s23, s34
	s_mov_b32 s3, 0
	v_add_nc_u64_e32 v[44:45], s[4:5], v[36:37]
	s_add_nc_u64 s[2:3], s[6:7], s[2:3]
	v_dual_mov_b32 v37, 0 :: v_dual_mul_f32 v43, v1, v14
	s_add_nc_u64 s[16:17], s[2:3], s[12:13]
	v_dual_mul_f32 v55, v1, v15 :: v_dual_mul_f32 v81, v1, v16
	global_load_b32 v42, v0, s[16:17] scale_offset
	v_dual_mul_f32 v83, v1, v17 :: v_dual_mul_f32 v84, v1, v10
	v_dual_mul_f32 v85, v1, v11 :: v_dual_mul_f32 v86, v1, v12
	;; [unrolled: 1-line block ×5, first 2 shown]
	s_delay_alu instid0(VALU_DEP_4)
	v_dual_mul_f32 v82, 0x3fb8aa3b, v55 :: v_dual_mul_f32 v99, 0x3fb8aa3b, v85
	v_dual_mul_f32 v96, 0x3fb8aa3b, v81 :: v_dual_mul_f32 v97, 0x3fb8aa3b, v83
	;; [unrolled: 1-line block ×6, first 2 shown]
	v_fma_f32 v110, 0x3fb8aa3b, v43, -v80
	v_rndne_f32_e32 v111, v80
	v_fma_f32 v112, 0x3fb8aa3b, v55, -v82
	v_fma_f32 v116, 0x3fb8aa3b, v83, -v97
	v_rndne_f32_e32 v117, v97
	v_fma_f32 v120, 0x3fb8aa3b, v85, -v99
	v_rndne_f32_e32 v121, v99
	;; [unrolled: 2-line block ×3, first 2 shown]
	v_rndne_f32_e32 v113, v82
	v_dual_mul_f32 v102, 0x3fb8aa3b, v88 :: v_dual_mul_f32 v105, 0x3fb8aa3b, v91
	v_dual_mul_f32 v104, 0x3fb8aa3b, v90 :: v_dual_mul_f32 v107, 0x3fb8aa3b, v93
	v_dual_mul_f32 v108, 0x3fb8aa3b, v94 :: v_dual_sub_f32 v97, v97, v117
	v_fma_f32 v114, 0x3fb8aa3b, v81, -v96
	v_rndne_f32_e32 v115, v96
	v_fma_f32 v118, 0x3fb8aa3b, v84, -v98
	v_rndne_f32_e32 v119, v98
	v_dual_sub_f32 v80, v80, v111 :: v_dual_sub_f32 v82, v82, v113
	v_dual_fmac_f32 v112, 0x32a5705f, v55 :: v_dual_sub_f32 v99, v99, v121
	v_rndne_f32_e32 v129, v103
	v_dual_fmac_f32 v116, 0x32a5705f, v83 :: v_dual_sub_f32 v101, v101, v125
	v_fmac_f32_e32 v110, 0x32a5705f, v43
	v_fmac_f32_e32 v124, 0x32a5705f, v87
	;; [unrolled: 1-line block ×3, first 2 shown]
	v_dual_mul_f32 v106, 0x3fb8aa3b, v92 :: v_dual_mul_f32 v109, 0x3fb8aa3b, v95
	v_rndne_f32_e32 v127, v102
	v_fma_f32 v128, 0x3fb8aa3b, v89, -v103
	v_fma_f32 v130, 0x3fb8aa3b, v90, -v104
	v_dual_fmac_f32 v118, 0x32a5705f, v84 :: v_dual_sub_f32 v103, v103, v129
	v_dual_add_f32 v97, v97, v116 :: v_dual_add_f32 v80, v80, v110
	v_add_f32_e32 v82, v82, v112
	v_rndne_f32_e32 v110, v104
	v_dual_add_f32 v101, v101, v124 :: v_dual_fmac_f32 v114, 0x32a5705f, v81
	v_dual_add_f32 v99, v99, v120 :: v_dual_sub_f32 v98, v98, v119
	v_sub_f32_e32 v96, v96, v115
	v_fma_f32 v120, 0x3fb8aa3b, v93, -v107
	ds_load_b128 v[46:49], v37
	ds_load_b128 v[50:53], v37 offset:16
	ds_load_b128 v[56:59], v37 offset:32
	;; [unrolled: 1-line block ×7, first 2 shown]
	v_fma_f32 v126, 0x3fb8aa3b, v88, -v102
	v_fma_f32 v112, 0x3fb8aa3b, v91, -v105
	;; [unrolled: 1-line block ×3, first 2 shown]
	v_add_f32_e32 v98, v98, v118
	v_add_f32_e32 v96, v96, v114
	v_rndne_f32_e32 v114, v105
	v_rndne_f32_e32 v118, v106
	v_fma_f32 v124, 0x3fb8aa3b, v94, -v108
	v_dual_sub_f32 v102, v102, v127 :: v_dual_sub_f32 v104, v104, v110
	v_fmac_f32_e32 v120, 0x32a5705f, v93
	v_fmac_f32_e32 v130, 0x32a5705f, v90
	v_exp_f32_e32 v82, v82
	v_fma_f32 v122, 0x3fb8aa3b, v86, -v100
	v_rndne_f32_e32 v123, v100
	v_cvt_i32_f32_e32 v113, v113
	v_dual_fmac_f32 v112, 0x32a5705f, v91 :: v_dual_sub_f32 v105, v105, v114
	v_fmac_f32_e32 v128, 0x32a5705f, v89
	v_fmac_f32_e32 v116, 0x32a5705f, v92
	;; [unrolled: 1-line block ×3, first 2 shown]
	v_sub_f32_e32 v106, v106, v118
	v_add_f32_e32 v104, v104, v130
	v_rndne_f32_e32 v130, v109
	v_fmac_f32_e32 v126, 0x32a5705f, v88
	v_exp_f32_e32 v80, v80
	v_exp_f32_e32 v97, v97
	s_load_b128 s[4:7], s[0:1], 0x70
	v_cvt_i32_f32_e32 v111, v111
	v_cvt_i32_f32_e32 v117, v117
	v_dual_add_f32 v105, v105, v112 :: v_dual_fmac_f32 v122, 0x32a5705f, v86
	v_add_f32_e32 v103, v103, v128
	v_fma_f32 v128, 0x3fb8aa3b, v95, -v109
	v_dual_sub_f32 v109, v109, v130 :: v_dual_sub_f32 v100, v100, v123
	v_add_f32_e32 v102, v102, v126
	v_rndne_f32_e32 v126, v108
	v_ldexp_f32 v82, v82, v113
	s_wait_xcnt 0x0
	v_cmp_ngt_f32_e64 s0, 0xc2ce8ed0, v55
	v_ldexp_f32 v80, v80, v111
	v_ldexp_f32 v97, v97, v117
	v_cvt_i32_f32_e32 v110, v110
	v_exp_f32_e32 v96, v96
	v_cndmask_b32_e64 v82, 0, v82, s0
	v_cmp_ngt_f32_e64 s0, 0xc2ce8ed0, v43
	v_sub_f32_e32 v108, v108, v126
	v_cvt_i32_f32_e32 v115, v115
	v_exp_f32_e32 v98, v98
	v_cvt_i32_f32_e32 v119, v119
	v_add_f32_e32 v100, v100, v122
	v_add_f32_e32 v108, v108, v124
	;; [unrolled: 1-line block ×3, first 2 shown]
	v_exp_f32_e32 v104, v104
	v_ldexp_f32 v96, v96, v115
	v_rndne_f32_e32 v122, v107
	v_exp_f32_e32 v99, v99
	v_cvt_i32_f32_e32 v121, v121
	v_ldexp_f32 v98, v98, v119
	v_cvt_i32_f32_e32 v123, v123
	v_ldexp_f32 v104, v104, v110
	v_cndmask_b32_e64 v110, 0, v80, s0
	v_cmp_ngt_f32_e64 s0, 0xc2ce8ed0, v83
	v_sub_f32_e32 v107, v107, v122
	v_exp_f32_e32 v100, v100
	v_ldexp_f32 v99, v99, v121
	v_exp_f32_e32 v101, v101
	v_cndmask_b32_e64 v97, 0, v97, s0
	v_cmp_ngt_f32_e64 s0, 0xc2ce8ed0, v81
	v_cvt_i32_f32_e32 v125, v125
	v_exp_f32_e32 v103, v103
	v_ldexp_f32 v100, v100, v123
	v_cvt_i32_f32_e32 v129, v129
	v_cndmask_b32_e64 v96, 0, v96, s0
	v_cmp_ngt_f32_e64 s0, 0xc2ce8ed0, v84
	v_ldexp_f32 v101, v101, v125
	v_exp_f32_e32 v102, v102
	v_cvt_i32_f32_e32 v127, v127
	v_ldexp_f32 v103, v103, v129
	v_cndmask_b32_e64 v98, 0, v98, s0
	v_cmp_ngt_f32_e64 s0, 0xc2ce8ed0, v85
	v_exp_f32_e32 v105, v105
	v_cvt_i32_f32_e32 v114, v114
	v_ldexp_f32 v102, v102, v127
	v_exp_f32_e32 v106, v106
	v_cndmask_b32_e64 v99, 0, v99, s0
	v_cmp_ngt_f32_e64 s0, 0xc2ce8ed0, v86
	v_cvt_i32_f32_e32 v118, v118
	v_ldexp_f32 v105, v105, v114
	v_cvt_i32_f32_e32 v122, v122
	v_exp_f32_e32 v108, v108
	v_cndmask_b32_e64 v100, 0, v100, s0
	v_cmp_ngt_f32_e64 s0, 0xc2ce8ed0, v87
	v_ldexp_f32 v106, v106, v118
	v_cvt_i32_f32_e32 v126, v126
	v_cvt_i32_f32_e32 v130, v130
	s_ashr_i32 s8, s27, 2
	v_cndmask_b32_e64 v101, 0, v101, s0
	v_cmp_ngt_f32_e64 s0, 0xc2ce8ed0, v89
	v_ldexp_f32 v108, v108, v126
	s_ashr_i32 s2, s29, 2
	s_ashr_i32 s9, s8, 31
	;; [unrolled: 1-line block ×3, first 2 shown]
	v_cndmask_b32_e64 v103, 0, v103, s0
	v_cmp_ngt_f32_e64 s0, 0xc2ce8ed0, v88
	s_delay_alu instid0(VALU_DEP_1) | instskip(SKIP_3) | instid1(VALU_DEP_2)
	v_cndmask_b32_e64 v102, 0, v102, s0
	v_cmp_nlt_f32_e64 s0, 0x42b17218, v43
	s_wait_loadcnt 0x0
	v_mul_f32_e32 v80, v1, v42
	v_cndmask_b32_e64 v42, 0x7f800000, v110, s0
	v_cmp_nlt_f32_e64 s0, 0x42b17218, v55
	s_wait_dscnt 0x7
	s_delay_alu instid0(VALU_DEP_3) | instskip(NEXT) | instid1(VALU_DEP_2)
	v_pk_mul_f32 v[46:47], v[80:81], v[46:47] op_sel_hi:[0,1]
	v_cndmask_b32_e64 v43, 0x7f800000, v82, s0
	v_cmp_ngt_f32_e64 s0, 0xc2ce8ed0, v91
	s_delay_alu instid0(VALU_DEP_2) | instskip(NEXT) | instid1(VALU_DEP_2)
	v_pk_fma_f32 v[42:43], v[30:31], v[42:43], v[46:47]
	v_cndmask_b32_e64 v1, 0, v105, s0
	v_cmp_nlt_f32_e64 s0, 0x42b17218, v81
	s_wait_dscnt 0x3
	s_delay_alu instid0(VALU_DEP_3) | instskip(NEXT) | instid1(VALU_DEP_2)
	v_fma_f32 v55, v64, v42, 0
	v_cndmask_b32_e64 v82, 0x7f800000, v96, s0
	v_cmp_nlt_f32_e64 s0, 0x42b17218, v83
	s_delay_alu instid0(VALU_DEP_3) | instskip(NEXT) | instid1(VALU_DEP_2)
	v_fmac_f32_e32 v55, v65, v43
	v_cndmask_b32_e64 v83, 0x7f800000, v97, s0
	v_cmp_nlt_f32_e64 s0, 0x42b17218, v84
	s_delay_alu instid0(VALU_DEP_1) | instskip(SKIP_1) | instid1(VALU_DEP_1)
	v_cndmask_b32_e64 v30, 0x7f800000, v98, s0
	v_cmp_nlt_f32_e64 s0, 0x42b17218, v85
	v_cndmask_b32_e64 v31, 0x7f800000, v99, s0
	v_cmp_ngt_f32_e64 s0, 0xc2ce8ed0, v90
	s_delay_alu instid0(VALU_DEP_1) | instskip(SKIP_3) | instid1(VALU_DEP_3)
	v_cndmask_b32_e64 v64, 0, v104, s0
	v_pk_mul_f32 v[46:47], v[80:81], v[48:49] op_sel_hi:[0,1]
	v_cmp_nlt_f32_e64 s0, 0x42b17218, v86
	v_pk_mul_f32 v[48:49], v[80:81], v[50:51] op_sel_hi:[0,1]
	v_pk_fma_f32 v[32:33], v[32:33], v[82:83], v[46:47]
	s_delay_alu instid0(VALU_DEP_3) | instskip(SKIP_1) | instid1(VALU_DEP_4)
	v_cndmask_b32_e64 v46, 0x7f800000, v100, s0
	v_cmp_nlt_f32_e64 s0, 0x42b17218, v87
	v_pk_fma_f32 v[30:31], v[26:27], v[30:31], v[48:49]
	v_pk_mul_f32 v[26:27], v[80:81], v[52:53] op_sel_hi:[0,1]
	v_fmac_f32_e32 v55, v66, v32
	v_add_f32_e32 v107, v107, v120
	v_cndmask_b32_e64 v47, 0x7f800000, v101, s0
	v_cmp_ngt_f32_e64 s0, 0xc2ce8ed0, v92
	s_wait_dscnt 0x2
	v_pk_mul_f32 v[48:49], v[68:69], v[30:31]
	v_fmac_f32_e32 v55, v67, v33
	v_exp_f32_e32 v107, v107
	v_pk_fma_f32 v[26:27], v[28:29], v[46:47], v[26:27]
	v_cndmask_b32_e64 v52, 0, v106, s0
	v_cmp_nlt_f32_e64 s0, 0x42b17218, v88
	v_add_f32_e32 v48, v55, v48
	v_fmac_f32_e32 v128, 0x32a5705f, v95
	v_pk_mul_f32 v[46:47], v[70:71], v[26:27]
	v_ldexp_f32 v107, v107, v122
	v_cndmask_b32_e64 v50, 0x7f800000, v102, s0
	v_cmp_nlt_f32_e64 s0, 0x42b17218, v89
	v_add_f32_e32 v49, v48, v49
	v_pk_mul_f32 v[28:29], v[80:81], v[56:57] op_sel_hi:[0,1]
	v_add_f32_e32 v109, v109, v128
	s_delay_alu instid0(VALU_DEP_4) | instskip(SKIP_2) | instid1(VALU_DEP_4)
	v_cndmask_b32_e64 v51, 0x7f800000, v103, s0
	v_cmp_ngt_f32_e64 s0, 0xc2ce8ed0, v93
	v_add_f32_e32 v46, v49, v46
	v_exp_f32_e32 v109, v109
	s_delay_alu instid0(VALU_DEP_3) | instskip(NEXT) | instid1(VALU_DEP_3)
	v_pk_fma_f32 v[22:23], v[22:23], v[50:51], v[28:29]
	v_cndmask_b32_e64 v53, 0, v107, s0
	v_cmp_nlt_f32_e64 s0, 0x42b17218, v90
	v_pk_mul_f32 v[28:29], v[80:81], v[58:59] op_sel_hi:[0,1]
	s_wait_dscnt 0x1
	v_pk_mul_f32 v[50:51], v[72:73], v[22:23]
	v_ldexp_f32 v109, v109, v130
	v_cndmask_b32_e64 v48, 0x7f800000, v64, s0
	v_cmp_nlt_f32_e64 s0, 0x42b17218, v91
	s_delay_alu instid0(VALU_DEP_1) | instskip(SKIP_2) | instid1(VALU_DEP_3)
	v_cndmask_b32_e64 v49, 0x7f800000, v1, s0
	v_cmp_ngt_f32_e64 s0, 0xc2ce8ed0, v94
	v_add_f32_e32 v1, v46, v47
	v_pk_fma_f32 v[24:25], v[24:25], v[48:49], v[28:29]
	s_delay_alu instid0(VALU_DEP_3) | instskip(SKIP_2) | instid1(VALU_DEP_4)
	v_cndmask_b32_e64 v55, 0, v108, s0
	v_cmp_nlt_f32_e64 s0, 0x42b17218, v92
	v_pk_mul_f32 v[28:29], v[80:81], v[60:61] op_sel_hi:[0,1]
	v_pk_mul_f32 v[48:49], v[74:75], v[24:25]
	s_delay_alu instid0(VALU_DEP_3) | instskip(SKIP_1) | instid1(VALU_DEP_1)
	v_cndmask_b32_e64 v46, 0x7f800000, v52, s0
	v_cmp_nlt_f32_e64 s0, 0x42b17218, v93
	v_cndmask_b32_e64 v47, 0x7f800000, v53, s0
	v_cmp_ngt_f32_e64 s0, 0xc2ce8ed0, v95
	v_add_f32_e32 v1, v1, v50
	s_delay_alu instid0(VALU_DEP_3) | instskip(SKIP_1) | instid1(VALU_DEP_3)
	v_pk_fma_f32 v[18:19], v[18:19], v[46:47], v[28:29]
	v_pk_mul_f32 v[28:29], v[80:81], v[62:63] op_sel_hi:[0,1]
	v_dual_add_f32 v1, v1, v51 :: v_dual_cndmask_b32 v51, 0, v109, s0
	v_cmp_nlt_f32_e64 s0, 0x42b17218, v94
	s_wait_dscnt 0x0
	v_pk_mul_f32 v[46:47], v[76:77], v[18:19]
	s_delay_alu instid0(VALU_DEP_3) | instskip(NEXT) | instid1(VALU_DEP_3)
	v_add_f32_e32 v1, v1, v48
	v_cndmask_b32_e64 v50, 0x7f800000, v55, s0
	v_cmp_nlt_f32_e64 s0, 0x42b17218, v95
	s_delay_alu instid0(VALU_DEP_3) | instskip(NEXT) | instid1(VALU_DEP_2)
	v_add_f32_e32 v1, v1, v49
	v_cndmask_b32_e64 v51, 0x7f800000, v51, s0
	s_wait_kmcnt 0x0
	s_mul_u64 s[0:1], s[34:35], s[6:7]
	s_delay_alu instid0(VALU_DEP_2) | instskip(SKIP_3) | instid1(VALU_DEP_2)
	v_add_f32_e32 v1, v1, v46
	s_mul_u64 s[0:1], s[0:1], 20
	v_pk_fma_f32 v[20:21], v[20:21], v[50:51], v[28:29]
	s_add_nc_u64 s[0:1], s[18:19], s[0:1]
	v_add_f32_e32 v1, v1, v47
	s_add_nc_u64 s[0:1], s[0:1], s[12:13]
	s_delay_alu instid0(VALU_DEP_2) | instskip(NEXT) | instid1(VALU_DEP_1)
	v_pk_mul_f32 v[28:29], v[78:79], v[20:21]
	v_add_f32_e32 v1, v1, v28
	s_delay_alu instid0(VALU_DEP_1)
	v_add_f32_e32 v1, v1, v29
	global_store_b32 v0, v1, s[0:1] scale_offset
	s_wait_storecnt 0x0
	s_barrier_signal -1
	s_barrier_wait -1
	s_wait_xcnt 0x0
	s_and_saveexec_b32 s12, vcc_lo
	s_cbranch_execz .LBB6_6
; %bb.5:
	v_lshl_add_u64 v[0:1], s[8:9], 2, v[40:41]
	v_lshl_add_u64 v[28:29], s[2:3], 2, v[38:39]
	global_load_b32 v46, v[0:1], off
	global_load_b32 v47, v[28:29], off
	s_wait_loadcnt 0x1
	ds_store_b32 v36, v46
	s_wait_loadcnt 0x0
	ds_store_b32 v54, v47
.LBB6_6:
	s_or_b32 exec_lo, exec_lo, s12
	s_ashr_i32 s14, s24, 2
	s_wait_dscnt 0x0
	s_ashr_i32 s15, s14, 31
	s_barrier_signal -1
	v_lshl_add_u64 v[28:29], s[14:15], 2, v[44:45]
	s_barrier_wait -1
	v_add_nc_u64_e32 v[44:45], s[16:17], v[36:37]
	v_add_nc_u64_e32 v[0:1], s[0:1], v[36:37]
	global_load_b32 v46, v[28:29], off
	s_mov_b32 s1, exec_lo
	s_wait_loadcnt 0x0
	v_cmpx_ge_f32_e32 0x41a00000, v46
	s_cbranch_execz .LBB6_8
; %bb.7:
	v_mul_f32_e32 v37, 0x3fb8aa3b, v46
	v_cmp_ngt_f32_e64 s0, 0xc2ce8ed0, v46
	s_delay_alu instid0(VALU_DEP_2) | instskip(SKIP_1) | instid1(VALU_DEP_1)
	v_rndne_f32_e32 v47, v37
	v_fma_f32 v48, 0x3fb8aa3b, v46, -v37
	v_dual_sub_f32 v37, v37, v47 :: v_dual_fmamk_f32 v48, v46, 0x32a5705f, v48
	v_cvt_i32_f32_e32 v47, v47
	s_delay_alu instid0(VALU_DEP_2) | instskip(NEXT) | instid1(VALU_DEP_1)
	v_add_f32_e32 v37, v37, v48
	v_exp_f32_e32 v37, v37
	v_nop
	s_delay_alu instid0(TRANS32_DEP_1) | instskip(NEXT) | instid1(VALU_DEP_1)
	v_ldexp_f32 v37, v37, v47
	v_cndmask_b32_e64 v37, 0, v37, s0
	v_cmp_nlt_f32_e64 s0, 0x42b17218, v46
	s_delay_alu instid0(VALU_DEP_1) | instskip(NEXT) | instid1(VALU_DEP_1)
	v_cndmask_b32_e64 v55, 0x7f800000, v37, s0
	v_add_f32_e32 v37, 1.0, v55
	s_delay_alu instid0(VALU_DEP_1) | instskip(NEXT) | instid1(VALU_DEP_1)
	v_cvt_f64_f32_e32 v[46:47], v37
	v_frexp_exp_i32_f64_e32 v46, v[46:47]
	v_frexp_mant_f32_e32 v47, v37
	s_delay_alu instid0(VALU_DEP_1) | instskip(NEXT) | instid1(VALU_DEP_1)
	v_cmp_gt_f32_e64 s0, 0x3f2aaaab, v47
	v_subrev_co_ci_u32_e64 v52, null, 0, v46, s0
	v_add_f32_e32 v46, -1.0, v37
	s_mov_b32 s0, 0x3e9b6dac
	s_delay_alu instid0(VALU_DEP_1) | instskip(NEXT) | instid1(VALU_DEP_1)
	v_dual_sub_f32 v48, v46, v37 :: v_dual_sub_nc_u32 v47, 0, v52
	v_dual_sub_f32 v46, v55, v46 :: v_dual_add_f32 v48, 1.0, v48
	s_delay_alu instid0(VALU_DEP_1) | instskip(NEXT) | instid1(VALU_DEP_3)
	v_add_f32_e32 v46, v46, v48
	v_ldexp_f32 v37, v37, v47
	s_delay_alu instid0(VALU_DEP_2) | instskip(NEXT) | instid1(VALU_DEP_2)
	v_ldexp_f32 v46, v46, v47
	v_dual_add_f32 v49, 1.0, v37 :: v_dual_add_f32 v51, -1.0, v37
	s_delay_alu instid0(VALU_DEP_1) | instskip(NEXT) | instid1(VALU_DEP_1)
	v_add_f32_e32 v48, -1.0, v49
	v_dual_sub_f32 v47, v37, v48 :: v_dual_add_f32 v48, 1.0, v51
	s_delay_alu instid0(VALU_DEP_1) | instskip(NEXT) | instid1(VALU_DEP_1)
	v_dual_add_f32 v50, v46, v47 :: v_dual_sub_f32 v37, v37, v48
	v_dual_add_f32 v53, v49, v50 :: v_dual_add_f32 v37, v46, v37
	s_delay_alu instid0(VALU_DEP_1) | instskip(SKIP_1) | instid1(VALU_DEP_1)
	v_sub_f32_e32 v46, v49, v53
	v_rcp_f32_e32 v56, v53
	v_dual_add_f32 v58, v50, v46 :: v_dual_add_f32 v47, v51, v37
	s_delay_alu instid0(TRANS32_DEP_1) | instid1(VALU_DEP_1)
	v_mul_f32_e32 v57, v47, v56
	s_delay_alu instid0(VALU_DEP_1) | instskip(NEXT) | instid1(VALU_DEP_1)
	v_mul_f32_e32 v48, v53, v57
	v_fma_f32 v50, v57, v53, -v48
	s_delay_alu instid0(VALU_DEP_1) | instskip(NEXT) | instid1(VALU_DEP_1)
	v_dual_fmac_f32 v50, v57, v58 :: v_dual_sub_f32 v59, v51, v47
	v_dual_add_f32 v46, v48, v50 :: v_dual_add_f32 v37, v37, v59
	s_delay_alu instid0(VALU_DEP_1) | instskip(NEXT) | instid1(VALU_DEP_1)
	v_dual_sub_f32 v49, v47, v46 :: v_dual_mov_b32 v51, v46
	v_pk_add_f32 v[46:47], v[46:47], v[48:49] neg_lo:[0,1] neg_hi:[0,1]
	s_delay_alu instid0(VALU_DEP_1) | instskip(NEXT) | instid1(VALU_DEP_1)
	v_pk_add_f32 v[46:47], v[46:47], v[50:51] neg_lo:[0,1] neg_hi:[0,1]
	v_add_f32_e32 v37, v37, v47
	s_delay_alu instid0(VALU_DEP_1) | instskip(NEXT) | instid1(VALU_DEP_1)
	v_add_f32_e32 v37, v46, v37
	v_add_f32_e32 v47, v49, v37
	s_delay_alu instid0(VALU_DEP_1) | instskip(NEXT) | instid1(VALU_DEP_1)
	v_mul_f32_e32 v59, v56, v47
	v_mul_f32_e32 v50, v53, v59
	s_delay_alu instid0(VALU_DEP_1) | instskip(NEXT) | instid1(VALU_DEP_1)
	v_fma_f32 v48, v59, v53, -v50
	v_dual_fmac_f32 v48, v59, v58 :: v_dual_sub_f32 v53, v49, v47
	s_delay_alu instid0(VALU_DEP_1) | instskip(NEXT) | instid1(VALU_DEP_1)
	v_dual_add_f32 v46, v50, v48 :: v_dual_add_f32 v37, v37, v53
	v_dual_sub_f32 v51, v47, v46 :: v_dual_mov_b32 v49, v46
	s_delay_alu instid0(VALU_DEP_1) | instskip(NEXT) | instid1(VALU_DEP_1)
	v_pk_add_f32 v[46:47], v[46:47], v[50:51] neg_lo:[0,1] neg_hi:[0,1]
	v_pk_add_f32 v[46:47], v[46:47], v[48:49] neg_lo:[0,1] neg_hi:[0,1]
	v_add_f32_e32 v50, v57, v59
	v_cvt_f32_i32_e32 v48, v52
	s_delay_alu instid0(VALU_DEP_3) | instskip(NEXT) | instid1(VALU_DEP_1)
	v_add_f32_e32 v37, v37, v47
	v_add_f32_e32 v37, v46, v37
	s_delay_alu instid0(VALU_DEP_4) | instskip(NEXT) | instid1(VALU_DEP_2)
	v_sub_f32_e32 v46, v50, v57
	v_add_f32_e32 v37, v51, v37
	s_delay_alu instid0(VALU_DEP_1) | instskip(NEXT) | instid1(VALU_DEP_1)
	v_dual_sub_f32 v46, v59, v46 :: v_dual_mul_f32 v37, v56, v37
	v_dual_add_f32 v37, v46, v37 :: v_dual_mov_b32 v46, 0x3f317218
	s_delay_alu instid0(VALU_DEP_1) | instskip(NEXT) | instid1(VALU_DEP_1)
	v_add_f32_e32 v51, v50, v37
	v_mul_f32_e32 v47, v51, v51
	s_delay_alu instid0(VALU_DEP_1) | instskip(SKIP_2) | instid1(VALU_DEP_3)
	v_fmaak_f32 v53, s0, v47, 0x3ecc95a3
	v_mul_f32_e32 v49, v51, v47
	v_cmp_neq_f32_e64 s0, 0x7f800000, v55
	v_fmaak_f32 v47, v47, v53, 0x3f2aaada
	s_delay_alu instid0(VALU_DEP_1) | instskip(NEXT) | instid1(VALU_DEP_1)
	v_pk_mul_f32 v[46:47], v[48:49], v[46:47]
	v_fma_f32 v52, 0x3f317218, v48, -v46
	s_delay_alu instid0(VALU_DEP_1) | instskip(SKIP_2) | instid1(VALU_DEP_2)
	v_fmamk_f32 v48, v48, 0xb102e308, v52
	v_ldexp_f32 v49, v51, 1
	v_sub_f32_e32 v52, v51, v50
	v_pk_add_f32 v[50:51], v[46:47], v[48:49]
	s_delay_alu instid0(VALU_DEP_2) | instskip(NEXT) | instid1(VALU_DEP_2)
	v_dual_sub_f32 v37, v37, v52 :: v_dual_mov_b32 v52, v46
	v_sub_f32_e32 v49, v51, v49
	s_delay_alu instid0(VALU_DEP_2) | instskip(SKIP_1) | instid1(VALU_DEP_3)
	v_ldexp_f32 v37, v37, 1
	v_mov_b32_e32 v62, v51
	v_sub_f32_e32 v49, v47, v49
	v_pk_add_f32 v[46:47], v[50:51], v[46:47] neg_lo:[0,1] neg_hi:[0,1]
	s_delay_alu instid0(VALU_DEP_2) | instskip(NEXT) | instid1(VALU_DEP_1)
	v_dual_add_f32 v53, v37, v49 :: v_dual_mov_b32 v49, v50
	v_pk_add_f32 v[56:57], v[50:51], v[52:53]
	s_delay_alu instid0(VALU_DEP_1) | instskip(NEXT) | instid1(VALU_DEP_1)
	v_mov_b32_e32 v47, v57
	v_pk_add_f32 v[58:59], v[48:49], v[46:47]
	v_pk_add_f32 v[46:47], v[48:49], v[46:47] neg_lo:[0,1] neg_hi:[0,1]
	s_delay_alu instid0(VALU_DEP_2) | instskip(NEXT) | instid1(VALU_DEP_1)
	v_dual_mov_b32 v52, v59 :: v_dual_mov_b32 v47, v59
	v_pk_add_f32 v[60:61], v[52:53], v[50:51] neg_lo:[0,1] neg_hi:[0,1]
	v_dual_mov_b32 v58, v57 :: v_dual_mov_b32 v51, v50
	s_delay_alu instid0(VALU_DEP_2) | instskip(SKIP_1) | instid1(VALU_DEP_2)
	v_dual_mov_b32 v50, v53 :: v_dual_mov_b32 v63, v60
	v_mov_b32_e32 v37, v60
	v_pk_add_f32 v[60:61], v[58:59], v[62:63] neg_lo:[0,1] neg_hi:[0,1]
	s_delay_alu instid0(VALU_DEP_2) | instskip(SKIP_1) | instid1(VALU_DEP_3)
	v_pk_add_f32 v[48:49], v[56:57], v[36:37] neg_lo:[0,1] neg_hi:[0,1]
	v_mov_b32_e32 v48, v46
	v_pk_add_f32 v[50:51], v[50:51], v[60:61] neg_lo:[0,1] neg_hi:[0,1]
	s_delay_alu instid0(VALU_DEP_1) | instskip(NEXT) | instid1(VALU_DEP_1)
	v_pk_add_f32 v[48:49], v[48:49], v[50:51]
	v_mov_b32_e32 v56, v49
	s_delay_alu instid0(VALU_DEP_1) | instskip(NEXT) | instid1(VALU_DEP_1)
	v_pk_add_f32 v[56:57], v[48:49], v[56:57]
	v_pk_add_f32 v[52:53], v[52:53], v[56:57]
	s_delay_alu instid0(VALU_DEP_1) | instskip(NEXT) | instid1(VALU_DEP_1)
	v_dual_mov_b32 v51, v56 :: v_dual_mov_b32 v49, v52
	v_pk_add_f32 v[58:59], v[48:49], v[46:47] neg_lo:[0,1] neg_hi:[0,1]
	s_delay_alu instid0(VALU_DEP_1) | instskip(NEXT) | instid1(VALU_DEP_2)
	v_sub_f32_e32 v37, v48, v58
	v_pk_add_f32 v[48:49], v[50:51], v[58:59] neg_lo:[0,1] neg_hi:[0,1]
	s_delay_alu instid0(VALU_DEP_2) | instskip(NEXT) | instid1(VALU_DEP_1)
	v_sub_f32_e32 v37, v46, v37
	v_add_f32_e32 v37, v48, v37
	s_delay_alu instid0(VALU_DEP_1) | instskip(NEXT) | instid1(VALU_DEP_1)
	v_add_f32_e32 v37, v37, v49
	v_add_f32_e32 v37, v52, v37
	s_delay_alu instid0(VALU_DEP_1) | instskip(SKIP_1) | instid1(VALU_DEP_1)
	v_cndmask_b32_e64 v37, 0x7f800000, v37, s0
	v_cmp_gt_f32_e64 s0, 0x33800000, v55
	v_cndmask_b32_e64 v46, v37, v55, s0
.LBB6_8:
	s_or_b32 exec_lo, exec_lo, s1
	s_ashr_i32 s22, s22, 2
	s_delay_alu instid0(VALU_DEP_1)
	v_dual_mul_f32 v47, v46, v14 :: v_dual_mov_b32 v52, 0
	s_ashr_i32 s23, s22, 31
	v_dual_mul_f32 v53, v46, v15 :: v_dual_mul_f32 v55, v46, v16
	v_lshl_add_u64 v[44:45], s[22:23], 2, v[44:45]
	v_dual_mul_f32 v87, v46, v11 :: v_dual_mul_f32 v88, v46, v12
	v_dual_mul_f32 v91, v46, v7 :: v_dual_mul_f32 v92, v46, v8
	global_load_b32 v37, v[44:45], off
	v_dual_mul_f32 v93, v46, v9 :: v_dual_mul_f32 v94, v46, v2
	v_dual_mul_f32 v85, v46, v17 :: v_dual_mul_f32 v86, v46, v10
	;; [unrolled: 1-line block ×8, first 2 shown]
	ds_load_b128 v[48:51], v52
	ds_load_b128 v[56:59], v52 offset:16
	v_dual_mul_f32 v100, 0x3fb8aa3b, v85 :: v_dual_mul_f32 v101, 0x3fb8aa3b, v86
	v_dual_mul_f32 v104, 0x3fb8aa3b, v89 :: v_dual_mul_f32 v105, 0x3fb8aa3b, v90
	ds_load_b128 v[60:63], v52 offset:64
	ds_load_b128 v[64:67], v52 offset:80
	;; [unrolled: 1-line block ×6, first 2 shown]
	v_fma_f32 v52, 0x3fb8aa3b, v47, -v84
	v_rndne_f32_e32 v113, v84
	v_fma_f32 v114, 0x3fb8aa3b, v53, -v98
	v_rndne_f32_e32 v115, v98
	;; [unrolled: 2-line block ×4, first 2 shown]
	v_rndne_f32_e32 v133, v107
	v_rndne_f32_e32 v137, v109
	v_dual_mul_f32 v95, v46, v3 :: v_dual_mul_f32 v96, v46, v4
	v_fma_f32 v118, 0x3fb8aa3b, v85, -v100
	v_rndne_f32_e32 v119, v100
	v_rndne_f32_e32 v121, v101
	;; [unrolled: 1-line block ×3, first 2 shown]
	v_fma_f32 v126, 0x3fb8aa3b, v89, -v104
	v_rndne_f32_e32 v127, v104
	v_fma_f32 v130, 0x3fb8aa3b, v91, -v106
	v_rndne_f32_e32 v131, v106
	v_fma_f32 v132, 0x3fb8aa3b, v92, -v107
	v_fma_f32 v134, 0x3fb8aa3b, v93, -v108
	v_rndne_f32_e32 v135, v108
	v_fma_f32 v136, 0x3fb8aa3b, v94, -v109
	v_dual_fmac_f32 v52, 0x32a5705f, v47 :: v_dual_sub_f32 v99, v99, v117
	v_dual_sub_f32 v84, v84, v113 :: v_dual_sub_f32 v98, v98, v115
	v_fmac_f32_e32 v116, 0x32a5705f, v55
	v_dual_fmac_f32 v122, 0x32a5705f, v87 :: v_dual_sub_f32 v107, v107, v133
	v_dual_sub_f32 v102, v102, v123 :: v_dual_sub_f32 v109, v109, v137
	v_fmac_f32_e32 v114, 0x32a5705f, v53
	v_dual_mul_f32 v110, 0x3fb8aa3b, v95 :: v_dual_mul_f32 v111, 0x3fb8aa3b, v96
	v_fma_f32 v120, 0x3fb8aa3b, v86, -v101
	v_fma_f32 v124, 0x3fb8aa3b, v88, -v103
	v_dual_sub_f32 v100, v100, v119 :: v_dual_sub_f32 v103, v103, v125
	v_dual_sub_f32 v101, v101, v121 :: v_dual_sub_f32 v104, v104, v127
	v_dual_sub_f32 v106, v106, v131 :: v_dual_add_f32 v52, v84, v52
	v_fmac_f32_e32 v134, 0x32a5705f, v93
	v_dual_sub_f32 v108, v108, v135 :: v_dual_add_f32 v84, v98, v114
	v_add_f32_e32 v98, v99, v116
	v_fmac_f32_e32 v130, 0x32a5705f, v91
	v_fmac_f32_e32 v126, 0x32a5705f, v89
	;; [unrolled: 1-line block ×3, first 2 shown]
	v_mul_f32_e32 v112, 0x3fb8aa3b, v97
	v_rndne_f32_e32 v129, v105
	v_rndne_f32_e32 v139, v110
	;; [unrolled: 1-line block ×3, first 2 shown]
	v_fmac_f32_e32 v120, 0x32a5705f, v86
	v_dual_fmac_f32 v124, 0x32a5705f, v88 :: v_dual_add_f32 v99, v100, v118
	v_rndne_f32_e32 v143, v112
	v_fma_f32 v128, 0x3fb8aa3b, v90, -v105
	v_fma_f32 v138, 0x3fb8aa3b, v95, -v110
	v_fma_f32 v140, 0x3fb8aa3b, v96, -v111
	v_fma_f32 v142, 0x3fb8aa3b, v97, -v112
	v_dual_sub_f32 v105, v105, v129 :: v_dual_sub_f32 v110, v110, v139
	v_dual_add_f32 v100, v101, v120 :: v_dual_sub_f32 v111, v111, v141
	v_dual_sub_f32 v112, v112, v143 :: v_dual_add_f32 v101, v102, v122
	v_add_f32_e32 v102, v103, v124
	v_exp_f32_e32 v84, v84
	v_cvt_i32_f32_e32 v115, v115
	v_exp_f32_e32 v99, v99
	v_cvt_i32_f32_e32 v119, v119
	;; [unrolled: 2-line block ×3, first 2 shown]
	v_cmp_ngt_f32_e64 s0, 0xc2ce8ed0, v53
	v_ldexp_f32 v84, v84, v115
	v_add_f32_e32 v103, v104, v126
	v_exp_f32_e32 v101, v101
	v_fmac_f32_e32 v128, 0x32a5705f, v90
	v_cvt_i32_f32_e32 v123, v123
	v_ldexp_f32 v99, v99, v119
	v_ldexp_f32 v102, v102, v125
	v_cndmask_b32_e64 v84, 0, v84, s0
	v_cmp_ngt_f32_e64 s0, 0xc2ce8ed0, v85
	v_exp_f32_e32 v103, v103
	v_fmac_f32_e32 v138, 0x32a5705f, v95
	v_fmac_f32_e32 v132, 0x32a5705f, v92
	v_cvt_i32_f32_e32 v127, v127
	v_dual_add_f32 v104, v105, v128 :: v_dual_cndmask_b32 v99, 0, v99, s0
	v_ldexp_f32 v101, v101, v123
	v_cmp_ngt_f32_e64 s0, 0xc2ce8ed0, v87
	v_add_f32_e32 v105, v106, v130
	v_exp_f32_e32 v52, v52
	v_fmac_f32_e32 v136, 0x32a5705f, v94
	v_cvt_i32_f32_e32 v113, v113
	v_dual_add_f32 v106, v107, v132 :: v_dual_cndmask_b32 v101, 0, v101, s0
	v_ldexp_f32 v103, v103, v127
	v_cmp_ngt_f32_e64 s0, 0xc2ce8ed0, v89
	v_exp_f32_e32 v98, v98
	v_exp_f32_e32 v105, v105
	v_fmac_f32_e32 v140, 0x32a5705f, v96
	v_fmac_f32_e32 v142, 0x32a5705f, v97
	v_cvt_i32_f32_e32 v117, v117
	v_cvt_i32_f32_e32 v131, v131
	v_dual_add_f32 v107, v108, v134 :: v_dual_add_f32 v108, v109, v136
	v_cndmask_b32_e64 v103, 0, v103, s0
	v_ldexp_f32 v52, v52, v113
	v_cmp_ngt_f32_e64 s0, 0xc2ce8ed0, v47
	v_exp_f32_e32 v100, v100
	v_cvt_i32_f32_e32 v121, v121
	v_add_f32_e32 v109, v110, v138
	v_ldexp_f32 v98, v98, v117
	v_dual_add_f32 v110, v111, v140 :: v_dual_add_f32 v111, v112, v142
	v_ldexp_f32 v105, v105, v131
	v_cndmask_b32_e64 v112, 0, v52, s0
	v_cmp_ngt_f32_e64 s0, 0xc2ce8ed0, v55
	v_ldexp_f32 v100, v100, v121
	v_exp_f32_e32 v104, v104
	v_cvt_i32_f32_e32 v129, v129
	v_exp_f32_e32 v106, v106
	v_cndmask_b32_e64 v98, 0, v98, s0
	v_cmp_ngt_f32_e64 s0, 0xc2ce8ed0, v86
	v_cvt_i32_f32_e32 v133, v133
	v_exp_f32_e32 v107, v107
	v_ldexp_f32 v104, v104, v129
	v_cvt_i32_f32_e32 v135, v135
	v_cndmask_b32_e64 v100, 0, v100, s0
	v_cmp_ngt_f32_e64 s0, 0xc2ce8ed0, v88
	v_ldexp_f32 v106, v106, v133
	v_exp_f32_e32 v108, v108
	v_cvt_i32_f32_e32 v137, v137
	v_ldexp_f32 v107, v107, v135
	v_cndmask_b32_e64 v102, 0, v102, s0
	v_cmp_ngt_f32_e64 s0, 0xc2ce8ed0, v90
	v_exp_f32_e32 v109, v109
	v_cvt_i32_f32_e32 v139, v139
	v_ldexp_f32 v108, v108, v137
	v_exp_f32_e32 v110, v110
	v_cndmask_b32_e64 v104, 0, v104, s0
	v_cmp_ngt_f32_e64 s0, 0xc2ce8ed0, v91
	v_cvt_i32_f32_e32 v141, v141
	v_ldexp_f32 v109, v109, v139
	v_exp_f32_e32 v111, v111
	v_cvt_i32_f32_e32 v143, v143
	v_cndmask_b32_e64 v105, 0, v105, s0
	v_cmp_nlt_f32_e64 s0, 0x42b17218, v47
	v_ldexp_f32 v110, v110, v141
	s_mov_b32 s12, 0
	s_mov_b32 s13, s6
	v_ldexp_f32 v111, v111, v143
	s_wait_loadcnt 0x0
	v_mul_f32_e32 v52, v46, v37
	v_cndmask_b32_e64 v46, 0x7f800000, v112, s0
	v_cmp_nlt_f32_e64 s0, 0x42b17218, v53
	s_wait_dscnt 0x7
	s_delay_alu instid0(VALU_DEP_3) | instskip(NEXT) | instid1(VALU_DEP_2)
	v_pk_mul_f32 v[48:49], v[52:53], v[48:49] op_sel_hi:[0,1]
	v_cndmask_b32_e64 v47, 0x7f800000, v84, s0
	v_cmp_ngt_f32_e64 s0, 0xc2ce8ed0, v92
	s_delay_alu instid0(VALU_DEP_2) | instskip(NEXT) | instid1(VALU_DEP_2)
	v_pk_fma_f32 v[42:43], v[42:43], v[46:47], v[48:49]
	v_cndmask_b32_e64 v37, 0, v106, s0
	v_cmp_nlt_f32_e64 s0, 0x42b17218, v55
	v_pk_mul_f32 v[48:49], v[52:53], v[50:51] op_sel_hi:[0,1]
	s_wait_dscnt 0x5
	v_fma_f32 v53, v60, v42, 0
	s_delay_alu instid0(VALU_DEP_3) | instskip(SKIP_1) | instid1(VALU_DEP_3)
	v_cndmask_b32_e64 v84, 0x7f800000, v98, s0
	v_cmp_nlt_f32_e64 s0, 0x42b17218, v85
	v_pk_mul_f32 v[50:51], v[52:53], v[56:57] op_sel_hi:[0,1]
	v_fmac_f32_e32 v53, v61, v43
	s_delay_alu instid0(VALU_DEP_3) | instskip(SKIP_1) | instid1(VALU_DEP_2)
	v_cndmask_b32_e64 v85, 0x7f800000, v99, s0
	v_cmp_nlt_f32_e64 s0, 0x42b17218, v86
	v_pk_fma_f32 v[32:33], v[32:33], v[84:85], v[48:49]
	s_delay_alu instid0(VALU_DEP_2) | instskip(SKIP_1) | instid1(VALU_DEP_3)
	v_cndmask_b32_e64 v46, 0x7f800000, v100, s0
	v_cmp_nlt_f32_e64 s0, 0x42b17218, v87
	v_fmac_f32_e32 v53, v62, v32
	s_delay_alu instid0(VALU_DEP_2) | instskip(SKIP_1) | instid1(VALU_DEP_2)
	v_cndmask_b32_e64 v47, 0x7f800000, v101, s0
	v_cmp_ngt_f32_e64 s0, 0xc2ce8ed0, v93
	v_pk_fma_f32 v[46:47], v[30:31], v[46:47], v[50:51]
	s_delay_alu instid0(VALU_DEP_2)
	v_cndmask_b32_e64 v55, 0, v107, s0
	v_cmp_nlt_f32_e64 s0, 0x42b17218, v88
	v_pk_mul_f32 v[30:31], v[52:53], v[58:59] op_sel_hi:[0,1]
	v_fmac_f32_e32 v53, v63, v33
	s_wait_dscnt 0x4
	v_pk_mul_f32 v[50:51], v[64:65], v[46:47]
	v_cndmask_b32_e64 v48, 0x7f800000, v102, s0
	v_cmp_nlt_f32_e64 s0, 0x42b17218, v89
	s_delay_alu instid0(VALU_DEP_1) | instskip(SKIP_1) | instid1(VALU_DEP_2)
	v_cndmask_b32_e64 v49, 0x7f800000, v103, s0
	v_cmp_ngt_f32_e64 s0, 0xc2ce8ed0, v94
	v_pk_fma_f32 v[26:27], v[26:27], v[48:49], v[30:31]
	s_delay_alu instid0(VALU_DEP_2) | instskip(SKIP_4) | instid1(VALU_DEP_3)
	v_cndmask_b32_e64 v58, 0, v108, s0
	v_cmp_nlt_f32_e64 s0, 0x42b17218, v90
	s_wait_dscnt 0x3
	v_pk_mul_f32 v[30:31], v[52:53], v[68:69] op_sel_hi:[0,1]
	v_pk_mul_f32 v[48:49], v[66:67], v[26:27]
	v_cndmask_b32_e64 v56, 0x7f800000, v104, s0
	v_cmp_nlt_f32_e64 s0, 0x42b17218, v91
	s_delay_alu instid0(VALU_DEP_1) | instskip(SKIP_2) | instid1(VALU_DEP_3)
	v_cndmask_b32_e64 v57, 0x7f800000, v105, s0
	v_cmp_ngt_f32_e64 s0, 0xc2ce8ed0, v95
	v_add_f32_e32 v50, v53, v50
	v_pk_fma_f32 v[22:23], v[22:23], v[56:57], v[30:31]
	s_delay_alu instid0(VALU_DEP_3) | instskip(SKIP_1) | instid1(VALU_DEP_4)
	v_cndmask_b32_e64 v53, 0, v109, s0
	v_cmp_nlt_f32_e64 s0, 0x42b17218, v92
	v_add_f32_e32 v51, v50, v51
	s_wait_dscnt 0x1
	v_pk_mul_f32 v[56:57], v[76:77], v[22:23]
	v_pk_mul_f32 v[30:31], v[52:53], v[70:71] op_sel_hi:[0,1]
	v_cndmask_b32_e64 v50, 0x7f800000, v37, s0
	v_cmp_nlt_f32_e64 s0, 0x42b17218, v93
	v_add_f32_e32 v37, v51, v48
	s_delay_alu instid0(VALU_DEP_2) | instskip(SKIP_1) | instid1(VALU_DEP_3)
	v_cndmask_b32_e64 v51, 0x7f800000, v55, s0
	v_cmp_ngt_f32_e64 s0, 0xc2ce8ed0, v96
	v_add_f32_e32 v37, v37, v49
	s_delay_alu instid0(VALU_DEP_3) | instskip(NEXT) | instid1(VALU_DEP_3)
	v_pk_fma_f32 v[24:25], v[24:25], v[50:51], v[30:31]
	v_cndmask_b32_e64 v55, 0, v110, s0
	v_cmp_nlt_f32_e64 s0, 0x42b17218, v94
	v_pk_mul_f32 v[30:31], v[52:53], v[72:73] op_sel_hi:[0,1]
	s_delay_alu instid0(VALU_DEP_4) | instskip(NEXT) | instid1(VALU_DEP_3)
	v_pk_mul_f32 v[50:51], v[78:79], v[24:25]
	v_cndmask_b32_e64 v48, 0x7f800000, v58, s0
	v_cmp_nlt_f32_e64 s0, 0x42b17218, v95
	s_delay_alu instid0(VALU_DEP_1) | instskip(SKIP_2) | instid1(VALU_DEP_3)
	v_cndmask_b32_e64 v49, 0x7f800000, v53, s0
	v_cmp_ngt_f32_e64 s0, 0xc2ce8ed0, v97
	v_add_f32_e32 v37, v37, v56
	v_pk_fma_f32 v[18:19], v[18:19], v[48:49], v[30:31]
	s_delay_alu instid0(VALU_DEP_3) | instskip(SKIP_1) | instid1(VALU_DEP_4)
	v_cndmask_b32_e64 v53, 0, v111, s0
	v_cmp_nlt_f32_e64 s0, 0x42b17218, v96
	v_add_f32_e32 v37, v37, v57
	s_delay_alu instid0(VALU_DEP_3) | instskip(NEXT) | instid1(VALU_DEP_3)
	v_pk_mul_f32 v[30:31], v[52:53], v[74:75] op_sel_hi:[0,1]
	v_cndmask_b32_e64 v56, 0x7f800000, v55, s0
	v_cmp_nlt_f32_e64 s0, 0x42b17218, v97
	s_delay_alu instid0(VALU_DEP_1)
	v_cndmask_b32_e64 v57, 0x7f800000, v53, s0
	s_wait_dscnt 0x0
	v_pk_mul_f32 v[52:53], v[80:81], v[18:19]
	v_add_f32_e32 v37, v37, v50
	s_ashr_i64 s[0:1], s[12:13], 30
	v_pk_fma_f32 v[48:49], v[20:21], v[56:57], v[30:31]
	s_delay_alu instid0(VALU_DEP_1) | instskip(NEXT) | instid1(VALU_DEP_3)
	v_pk_mul_f32 v[20:21], v[82:83], v[48:49]
	v_add_f32_e32 v37, v37, v51
	s_delay_alu instid0(VALU_DEP_1) | instskip(NEXT) | instid1(VALU_DEP_1)
	v_add_f32_e32 v30, v37, v52
	v_add_f32_e32 v30, v30, v53
	s_delay_alu instid0(VALU_DEP_1) | instskip(SKIP_1) | instid1(VALU_DEP_2)
	v_add_f32_e32 v20, v30, v20
	v_add_nc_u64_e32 v[30:31], s[0:1], v[0:1]
	v_add_f32_e32 v20, v20, v21
	global_store_b32 v[30:31], v20, off
	s_wait_storecnt 0x0
	s_barrier_signal -1
	s_barrier_wait -1
	s_wait_xcnt 0x0
	s_and_saveexec_b32 s0, vcc_lo
	s_cbranch_execz .LBB6_10
; %bb.9:
	v_lshl_add_u64 v[20:21], s[8:9], 3, v[40:41]
	v_lshl_add_u64 v[30:31], s[2:3], 3, v[38:39]
	global_load_b32 v37, v[20:21], off
	global_load_b32 v50, v[30:31], off
	s_wait_loadcnt 0x1
	ds_store_b32 v36, v37
	s_wait_loadcnt 0x0
	ds_store_b32 v54, v50
.LBB6_10:
	s_or_b32 exec_lo, exec_lo, s0
	s_lshl_b64 s[16:17], s[14:15], 2
	s_wait_dscnt 0x0
	v_add_nc_u64_e32 v[50:51], s[16:17], v[28:29]
	s_barrier_signal -1
	s_barrier_wait -1
	s_mov_b32 s1, exec_lo
	global_load_b32 v20, v[50:51], off
	s_wait_loadcnt 0x0
	v_cmpx_ge_f32_e32 0x41a00000, v20
	s_cbranch_execz .LBB6_12
; %bb.11:
	v_mul_f32_e32 v21, 0x3fb8aa3b, v20
	v_cmp_ngt_f32_e64 s0, 0xc2ce8ed0, v20
	s_delay_alu instid0(VALU_DEP_2) | instskip(SKIP_1) | instid1(VALU_DEP_2)
	v_rndne_f32_e32 v28, v21
	v_fma_f32 v29, 0x3fb8aa3b, v20, -v21
	v_sub_f32_e32 v21, v21, v28
	s_delay_alu instid0(VALU_DEP_2) | instskip(SKIP_1) | instid1(VALU_DEP_2)
	v_fmamk_f32 v29, v20, 0x32a5705f, v29
	v_cvt_i32_f32_e32 v28, v28
	v_add_f32_e32 v21, v21, v29
	s_delay_alu instid0(VALU_DEP_1) | instskip(SKIP_1) | instid1(TRANS32_DEP_1)
	v_exp_f32_e32 v21, v21
	v_nop
	v_ldexp_f32 v21, v21, v28
	s_delay_alu instid0(VALU_DEP_1) | instskip(SKIP_1) | instid1(VALU_DEP_1)
	v_cndmask_b32_e64 v21, 0, v21, s0
	v_cmp_nlt_f32_e64 s0, 0x42b17218, v20
	v_cndmask_b32_e64 v55, 0x7f800000, v21, s0
	s_delay_alu instid0(VALU_DEP_1) | instskip(NEXT) | instid1(VALU_DEP_1)
	v_add_f32_e32 v28, 1.0, v55
	v_cvt_f64_f32_e32 v[20:21], v28
	s_delay_alu instid0(VALU_DEP_1) | instskip(SKIP_1) | instid1(VALU_DEP_1)
	v_frexp_exp_i32_f64_e32 v20, v[20:21]
	v_frexp_mant_f32_e32 v21, v28
	v_cmp_gt_f32_e64 s0, 0x3f2aaaab, v21
	s_delay_alu instid0(VALU_DEP_1) | instskip(SKIP_2) | instid1(VALU_DEP_1)
	v_subrev_co_ci_u32_e64 v37, null, 0, v20, s0
	v_add_f32_e32 v20, -1.0, v28
	s_mov_b32 s0, 0x3e9b6dac
	v_dual_sub_nc_u32 v21, 0, v37 :: v_dual_sub_f32 v29, v20, v28
	v_sub_f32_e32 v20, v55, v20
	s_delay_alu instid0(VALU_DEP_2) | instskip(NEXT) | instid1(VALU_DEP_1)
	v_ldexp_f32 v28, v28, v21
	v_dual_add_f32 v29, 1.0, v29 :: v_dual_add_f32 v31, -1.0, v28
	s_delay_alu instid0(VALU_DEP_1) | instskip(NEXT) | instid1(VALU_DEP_1)
	v_dual_add_f32 v30, 1.0, v28 :: v_dual_add_f32 v20, v20, v29
	v_add_f32_e32 v29, -1.0, v30
	s_delay_alu instid0(VALU_DEP_2) | instskip(NEXT) | instid1(VALU_DEP_2)
	v_ldexp_f32 v20, v20, v21
	v_dual_sub_f32 v21, v28, v29 :: v_dual_add_f32 v29, 1.0, v31
	s_delay_alu instid0(VALU_DEP_1) | instskip(NEXT) | instid1(VALU_DEP_2)
	v_add_f32_e32 v52, v20, v21
	v_sub_f32_e32 v21, v28, v29
	s_delay_alu instid0(VALU_DEP_1) | instskip(NEXT) | instid1(VALU_DEP_1)
	v_dual_add_f32 v56, v20, v21 :: v_dual_add_f32 v53, v30, v52
	v_dual_add_f32 v21, v31, v56 :: v_dual_sub_f32 v20, v30, v53
	v_rcp_f32_e32 v57, v53
	s_delay_alu instid0(VALU_DEP_1) | instskip(NEXT) | instid1(TRANS32_DEP_1)
	v_dual_sub_f32 v59, v31, v21 :: v_dual_add_f32 v52, v52, v20
	v_mul_f32_e32 v58, v21, v57
	s_delay_alu instid0(VALU_DEP_1) | instskip(NEXT) | instid1(VALU_DEP_1)
	v_mul_f32_e32 v28, v53, v58
	v_fma_f32 v30, v58, v53, -v28
	s_delay_alu instid0(VALU_DEP_1) | instskip(NEXT) | instid1(VALU_DEP_1)
	v_fmac_f32_e32 v30, v58, v52
	v_add_f32_e32 v20, v28, v30
	s_delay_alu instid0(VALU_DEP_1) | instskip(NEXT) | instid1(VALU_DEP_1)
	v_dual_sub_f32 v29, v21, v20 :: v_dual_mov_b32 v31, v20
	v_pk_add_f32 v[20:21], v[20:21], v[28:29] neg_lo:[0,1] neg_hi:[0,1]
	v_add_f32_e32 v28, v56, v59
	s_delay_alu instid0(VALU_DEP_2) | instskip(NEXT) | instid1(VALU_DEP_1)
	v_pk_add_f32 v[20:21], v[20:21], v[30:31] neg_lo:[0,1] neg_hi:[0,1]
	v_add_f32_e32 v21, v28, v21
	s_delay_alu instid0(VALU_DEP_1) | instskip(NEXT) | instid1(VALU_DEP_1)
	v_add_f32_e32 v56, v20, v21
	v_add_f32_e32 v21, v29, v56
	s_delay_alu instid0(VALU_DEP_1) | instskip(NEXT) | instid1(VALU_DEP_1)
	v_mul_f32_e32 v59, v57, v21
	v_mul_f32_e32 v30, v53, v59
	s_delay_alu instid0(VALU_DEP_1) | instskip(NEXT) | instid1(VALU_DEP_1)
	v_fma_f32 v28, v59, v53, -v30
	v_fmac_f32_e32 v28, v59, v52
	s_delay_alu instid0(VALU_DEP_1) | instskip(NEXT) | instid1(VALU_DEP_1)
	v_dual_add_f32 v20, v30, v28 :: v_dual_sub_f32 v52, v29, v21
	v_dual_mov_b32 v29, v20 :: v_dual_sub_f32 v31, v21, v20
	s_delay_alu instid0(VALU_DEP_1) | instskip(NEXT) | instid1(VALU_DEP_3)
	v_pk_add_f32 v[20:21], v[20:21], v[30:31] neg_lo:[0,1] neg_hi:[0,1]
	v_add_f32_e32 v30, v56, v52
	s_delay_alu instid0(VALU_DEP_2) | instskip(SKIP_1) | instid1(VALU_DEP_2)
	v_pk_add_f32 v[20:21], v[20:21], v[28:29] neg_lo:[0,1] neg_hi:[0,1]
	v_cvt_f32_i32_e32 v28, v37
	v_add_f32_e32 v21, v30, v21
	s_delay_alu instid0(VALU_DEP_1) | instskip(NEXT) | instid1(VALU_DEP_1)
	v_dual_add_f32 v30, v58, v59 :: v_dual_add_f32 v20, v20, v21
	v_dual_add_f32 v20, v31, v20 :: v_dual_sub_f32 v21, v30, v58
	s_delay_alu instid0(VALU_DEP_1) | instskip(NEXT) | instid1(VALU_DEP_1)
	v_dual_mul_f32 v20, v57, v20 :: v_dual_sub_f32 v21, v59, v21
	v_add_f32_e32 v52, v21, v20
	s_delay_alu instid0(VALU_DEP_1) | instskip(NEXT) | instid1(VALU_DEP_1)
	v_dual_mov_b32 v20, 0x3f317218 :: v_dual_add_f32 v31, v30, v52
	v_mul_f32_e32 v21, v31, v31
	s_delay_alu instid0(VALU_DEP_1) | instskip(SKIP_2) | instid1(VALU_DEP_3)
	v_fmaak_f32 v53, s0, v21, 0x3ecc95a3
	v_mul_f32_e32 v29, v31, v21
	v_cmp_neq_f32_e64 s0, 0x7f800000, v55
	v_fmaak_f32 v21, v21, v53, 0x3f2aaada
	s_delay_alu instid0(VALU_DEP_1) | instskip(SKIP_1) | instid1(VALU_DEP_2)
	v_pk_mul_f32 v[20:21], v[28:29], v[20:21]
	v_ldexp_f32 v29, v31, 1
	v_fma_f32 v37, 0x3f317218, v28, -v20
	s_delay_alu instid0(VALU_DEP_1) | instskip(NEXT) | instid1(VALU_DEP_1)
	v_dual_fmamk_f32 v28, v28, 0xb102e308, v37 :: v_dual_sub_f32 v37, v31, v30
	v_pk_add_f32 v[30:31], v[20:21], v[28:29]
	s_delay_alu instid0(VALU_DEP_1) | instskip(NEXT) | instid1(VALU_DEP_3)
	v_sub_f32_e32 v29, v31, v29
	v_sub_f32_e32 v37, v52, v37
	v_dual_mov_b32 v52, v20 :: v_dual_mov_b32 v62, v31
	s_delay_alu instid0(VALU_DEP_3) | instskip(NEXT) | instid1(VALU_DEP_3)
	v_sub_f32_e32 v29, v21, v29
	v_ldexp_f32 v37, v37, 1
	v_pk_add_f32 v[20:21], v[30:31], v[20:21] neg_lo:[0,1] neg_hi:[0,1]
	s_delay_alu instid0(VALU_DEP_2) | instskip(NEXT) | instid1(VALU_DEP_1)
	v_dual_add_f32 v53, v37, v29 :: v_dual_mov_b32 v29, v30
	v_pk_add_f32 v[56:57], v[30:31], v[52:53]
	s_delay_alu instid0(VALU_DEP_1) | instskip(NEXT) | instid1(VALU_DEP_1)
	v_mov_b32_e32 v21, v57
	v_pk_add_f32 v[58:59], v[28:29], v[20:21]
	v_mov_b32_e32 v58, v57
	v_pk_add_f32 v[20:21], v[28:29], v[20:21] neg_lo:[0,1] neg_hi:[0,1]
	s_delay_alu instid0(VALU_DEP_3) | instskip(NEXT) | instid1(VALU_DEP_1)
	v_dual_mov_b32 v52, v59 :: v_dual_mov_b32 v21, v59
	v_pk_add_f32 v[60:61], v[52:53], v[30:31] neg_lo:[0,1] neg_hi:[0,1]
	s_delay_alu instid0(VALU_DEP_1) | instskip(SKIP_1) | instid1(VALU_DEP_2)
	v_dual_mov_b32 v63, v60 :: v_dual_mov_b32 v37, v60
	v_dual_mov_b32 v31, v30 :: v_dual_mov_b32 v30, v53
	v_pk_add_f32 v[60:61], v[58:59], v[62:63] neg_lo:[0,1] neg_hi:[0,1]
	s_delay_alu instid0(VALU_DEP_3) | instskip(SKIP_1) | instid1(VALU_DEP_3)
	v_pk_add_f32 v[28:29], v[56:57], v[36:37] neg_lo:[0,1] neg_hi:[0,1]
	v_mov_b32_e32 v28, v20
	v_pk_add_f32 v[30:31], v[30:31], v[60:61] neg_lo:[0,1] neg_hi:[0,1]
	s_delay_alu instid0(VALU_DEP_1) | instskip(NEXT) | instid1(VALU_DEP_1)
	v_pk_add_f32 v[28:29], v[28:29], v[30:31]
	v_mov_b32_e32 v56, v29
	s_delay_alu instid0(VALU_DEP_1) | instskip(NEXT) | instid1(VALU_DEP_1)
	v_pk_add_f32 v[56:57], v[28:29], v[56:57]
	v_pk_add_f32 v[52:53], v[52:53], v[56:57]
	s_delay_alu instid0(VALU_DEP_1) | instskip(NEXT) | instid1(VALU_DEP_1)
	v_dual_mov_b32 v31, v56 :: v_dual_mov_b32 v29, v52
	v_pk_add_f32 v[58:59], v[28:29], v[20:21] neg_lo:[0,1] neg_hi:[0,1]
	s_delay_alu instid0(VALU_DEP_1) | instskip(NEXT) | instid1(VALU_DEP_2)
	v_sub_f32_e32 v21, v28, v58
	v_pk_add_f32 v[28:29], v[30:31], v[58:59] neg_lo:[0,1] neg_hi:[0,1]
	s_delay_alu instid0(VALU_DEP_2) | instskip(NEXT) | instid1(VALU_DEP_1)
	v_sub_f32_e32 v20, v20, v21
	v_add_f32_e32 v20, v28, v20
	s_delay_alu instid0(VALU_DEP_1) | instskip(NEXT) | instid1(VALU_DEP_1)
	v_add_f32_e32 v20, v20, v29
	v_add_f32_e32 v20, v52, v20
	s_delay_alu instid0(VALU_DEP_1) | instskip(SKIP_1) | instid1(VALU_DEP_1)
	v_cndmask_b32_e64 v20, 0x7f800000, v20, s0
	v_cmp_gt_f32_e64 s0, 0x33800000, v55
	v_cndmask_b32_e64 v20, v20, v55, s0
.LBB6_12:
	s_or_b32 exec_lo, exec_lo, s1
	s_lshl_b64 s[14:15], s[22:23], 2
	s_delay_alu instid0(VALU_DEP_1)
	v_mul_f32_e32 v37, v20, v14
	v_add_nc_u64_e32 v[52:53], s[14:15], v[44:45]
	v_dual_mul_f32 v45, v20, v15 :: v_dual_mul_f32 v55, v20, v16
	v_dual_mul_f32 v87, v20, v11 :: v_dual_mul_f32 v88, v20, v12
	;; [unrolled: 1-line block ×3, first 2 shown]
	global_load_b32 v21, v[52:53], off
	v_dual_mul_f32 v91, v20, v7 :: v_dual_mul_f32 v92, v20, v8
	v_dual_mul_f32 v93, v20, v9 :: v_dual_mul_f32 v94, v20, v2
	v_dual_mul_f32 v95, v20, v3 :: v_dual_mul_f32 v96, v20, v4
	v_dual_mov_b32 v44, 0 :: v_dual_mul_f32 v85, v20, v17
	v_dual_mul_f32 v86, v20, v10 :: v_dual_mul_f32 v97, v20, v5
	v_mul_f32_e32 v102, 0x3fb8aa3b, v87
	v_dual_mul_f32 v84, 0x3fb8aa3b, v37 :: v_dual_mul_f32 v99, 0x3fb8aa3b, v55
	s_delay_alu instid0(VALU_DEP_3)
	v_dual_mul_f32 v98, 0x3fb8aa3b, v45 :: v_dual_mul_f32 v101, 0x3fb8aa3b, v86
	v_dual_mul_f32 v104, 0x3fb8aa3b, v89 :: v_dual_mul_f32 v105, 0x3fb8aa3b, v90
	;; [unrolled: 1-line block ×5, first 2 shown]
	ds_load_b128 v[28:31], v44
	ds_load_b128 v[56:59], v44 offset:16
	ds_load_b128 v[60:63], v44 offset:32
	;; [unrolled: 1-line block ×3, first 2 shown]
	v_dual_mul_f32 v100, 0x3fb8aa3b, v85 :: v_dual_mul_f32 v103, 0x3fb8aa3b, v88
	ds_load_b128 v[68:71], v44 offset:64
	ds_load_b128 v[72:75], v44 offset:80
	;; [unrolled: 1-line block ×4, first 2 shown]
	v_fma_f32 v44, 0x3fb8aa3b, v37, -v84
	v_rndne_f32_e32 v113, v84
	v_fma_f32 v114, 0x3fb8aa3b, v45, -v98
	v_rndne_f32_e32 v115, v98
	;; [unrolled: 2-line block ×5, first 2 shown]
	v_rndne_f32_e32 v129, v105
	v_rndne_f32_e32 v133, v107
	v_fma_f32 v134, 0x3fb8aa3b, v93, -v108
	v_rndne_f32_e32 v135, v108
	v_rndne_f32_e32 v141, v111
	v_fma_f32 v118, 0x3fb8aa3b, v85, -v100
	v_rndne_f32_e32 v119, v100
	v_fma_f32 v128, 0x3fb8aa3b, v90, -v105
	v_fma_f32 v130, 0x3fb8aa3b, v91, -v106
	v_rndne_f32_e32 v131, v106
	v_fma_f32 v132, 0x3fb8aa3b, v92, -v107
	v_fma_f32 v138, 0x3fb8aa3b, v95, -v110
	v_rndne_f32_e32 v139, v110
	v_fma_f32 v140, 0x3fb8aa3b, v96, -v111
	v_dual_sub_f32 v84, v84, v113 :: v_dual_sub_f32 v98, v98, v115
	v_dual_fmac_f32 v116, 0x32a5705f, v55 :: v_dual_sub_f32 v99, v99, v117
	v_dual_fmac_f32 v122, 0x32a5705f, v87 :: v_dual_sub_f32 v105, v105, v129
	v_dual_sub_f32 v102, v102, v123 :: v_dual_sub_f32 v107, v107, v133
	v_fmac_f32_e32 v44, 0x32a5705f, v37
	v_dual_sub_f32 v104, v104, v127 :: v_dual_sub_f32 v111, v111, v141
	v_fmac_f32_e32 v134, 0x32a5705f, v93
	v_sub_f32_e32 v108, v108, v135
	v_fmac_f32_e32 v126, 0x32a5705f, v89
	v_fmac_f32_e32 v114, 0x32a5705f, v45
	v_rndne_f32_e32 v121, v101
	v_sub_f32_e32 v100, v100, v119
	v_dual_sub_f32 v106, v106, v131 :: v_dual_add_f32 v44, v84, v44
	v_fmac_f32_e32 v138, 0x32a5705f, v95
	v_sub_f32_e32 v110, v110, v139
	v_dual_add_f32 v84, v98, v114 :: v_dual_add_f32 v98, v99, v116
	v_fmac_f32_e32 v130, 0x32a5705f, v91
	v_fmac_f32_e32 v118, 0x32a5705f, v85
	v_fma_f32 v120, 0x3fb8aa3b, v86, -v101
	v_sub_f32_e32 v101, v101, v121
	v_mul_f32_e32 v112, 0x3fb8aa3b, v97
	v_fma_f32 v124, 0x3fb8aa3b, v88, -v103
	v_add_f32_e32 v99, v100, v118
	v_rndne_f32_e32 v125, v103
	v_exp_f32_e32 v98, v98
	v_rndne_f32_e32 v137, v109
	v_rndne_f32_e32 v143, v112
	v_exp_f32_e32 v99, v99
	v_dual_fmac_f32 v120, 0x32a5705f, v86 :: v_dual_sub_f32 v103, v103, v125
	v_fmac_f32_e32 v124, 0x32a5705f, v88
	v_fmac_f32_e32 v128, 0x32a5705f, v90
	v_cvt_i32_f32_e32 v117, v117
	v_cvt_i32_f32_e32 v119, v119
	v_fma_f32 v136, 0x3fb8aa3b, v94, -v109
	v_fma_f32 v142, 0x3fb8aa3b, v97, -v112
	v_dual_sub_f32 v109, v109, v137 :: v_dual_sub_f32 v112, v112, v143
	v_dual_add_f32 v100, v101, v120 :: v_dual_add_f32 v101, v102, v122
	v_exp_f32_e32 v44, v44
	v_ldexp_f32 v98, v98, v117
	v_dual_add_f32 v102, v103, v124 :: v_dual_add_f32 v103, v104, v126
	v_ldexp_f32 v99, v99, v119
	v_dual_add_f32 v104, v105, v128 :: v_dual_add_f32 v105, v106, v130
	v_cvt_i32_f32_e32 v113, v113
	v_exp_f32_e32 v84, v84
	v_cvt_i32_f32_e32 v115, v115
	v_cvt_i32_f32_e32 v131, v131
	v_exp_f32_e32 v105, v105
	v_ldexp_f32 v44, v44, v113
	v_cmp_ngt_f32_e64 s0, 0xc2ce8ed0, v37
	v_exp_f32_e32 v101, v101
	v_exp_f32_e32 v103, v103
	v_fmac_f32_e32 v136, 0x32a5705f, v94
	v_fmac_f32_e32 v140, 0x32a5705f, v96
	;; [unrolled: 1-line block ×4, first 2 shown]
	v_cvt_i32_f32_e32 v123, v123
	v_cvt_i32_f32_e32 v127, v127
	v_ldexp_f32 v84, v84, v115
	v_ldexp_f32 v105, v105, v131
	v_cndmask_b32_e64 v44, 0, v44, s0
	v_cmp_ngt_f32_e64 s0, 0xc2ce8ed0, v45
	v_ldexp_f32 v101, v101, v123
	v_dual_add_f32 v106, v107, v132 :: v_dual_add_f32 v107, v108, v134
	v_dual_add_f32 v108, v109, v136 :: v_dual_add_f32 v109, v110, v138
	v_ldexp_f32 v103, v103, v127
	v_dual_add_f32 v110, v111, v140 :: v_dual_add_f32 v111, v112, v142
	v_cndmask_b32_e64 v112, 0, v84, s0
	v_cmp_ngt_f32_e64 s0, 0xc2ce8ed0, v55
	v_exp_f32_e32 v100, v100
	v_cvt_i32_f32_e32 v121, v121
	v_cvt_i32_f32_e32 v125, v125
	;; [unrolled: 1-line block ×3, first 2 shown]
	v_cndmask_b32_e64 v98, 0, v98, s0
	v_cmp_ngt_f32_e64 s0, 0xc2ce8ed0, v85
	v_exp_f32_e32 v102, v102
	v_ldexp_f32 v100, v100, v121
	v_exp_f32_e32 v107, v107
	v_cvt_i32_f32_e32 v135, v135
	v_cndmask_b32_e64 v99, 0, v99, s0
	v_cmp_ngt_f32_e64 s0, 0xc2ce8ed0, v86
	v_exp_f32_e32 v104, v104
	v_ldexp_f32 v102, v102, v125
	v_cvt_i32_f32_e32 v133, v133
	v_ldexp_f32 v107, v107, v135
	v_cndmask_b32_e64 v100, 0, v100, s0
	v_cmp_ngt_f32_e64 s0, 0xc2ce8ed0, v87
	v_cvt_i32_f32_e32 v137, v137
	v_ldexp_f32 v104, v104, v129
	v_exp_f32_e32 v109, v109
	v_cvt_i32_f32_e32 v139, v139
	v_cndmask_b32_e64 v101, 0, v101, s0
	v_cmp_ngt_f32_e64 s0, 0xc2ce8ed0, v88
	v_exp_f32_e32 v106, v106
	v_cvt_i32_f32_e32 v141, v141
	v_exp_f32_e32 v111, v111
	v_ldexp_f32 v109, v109, v139
	v_cndmask_b32_e64 v102, 0, v102, s0
	v_cmp_ngt_f32_e64 s0, 0xc2ce8ed0, v89
	v_exp_f32_e32 v108, v108
	v_ldexp_f32 v106, v106, v133
	v_cvt_i32_f32_e32 v143, v143
	s_delay_alu instid0(VALU_DEP_3) | instskip(SKIP_2) | instid1(TRANS32_DEP_2)
	v_cndmask_b32_e64 v103, 0, v103, s0
	v_cmp_ngt_f32_e64 s0, 0xc2ce8ed0, v90
	v_exp_f32_e32 v110, v110
	v_ldexp_f32 v108, v108, v137
	v_ldexp_f32 v111, v111, v143
	s_delay_alu instid0(VALU_DEP_3) | instskip(SKIP_1) | instid1(TRANS32_DEP_1)
	v_cndmask_b32_e64 v104, 0, v104, s0
	v_cmp_ngt_f32_e64 s0, 0xc2ce8ed0, v91
	v_ldexp_f32 v110, v110, v141
	s_delay_alu instid0(VALU_DEP_2) | instskip(SKIP_3) | instid1(VALU_DEP_2)
	v_cndmask_b32_e64 v105, 0, v105, s0
	v_cmp_nlt_f32_e64 s0, 0x42b17218, v37
	s_wait_loadcnt 0x0
	v_mul_f32_e32 v84, v20, v21
	v_cndmask_b32_e64 v20, 0x7f800000, v44, s0
	v_cmp_nlt_f32_e64 s0, 0x42b17218, v45
	s_wait_dscnt 0x7
	s_delay_alu instid0(VALU_DEP_3) | instskip(SKIP_1) | instid1(VALU_DEP_3)
	v_pk_mul_f32 v[28:29], v[84:85], v[28:29] op_sel_hi:[0,1]
	v_pk_mul_f32 v[30:31], v[84:85], v[30:31] op_sel_hi:[0,1]
	v_cndmask_b32_e64 v21, 0x7f800000, v112, s0
	v_cmp_ngt_f32_e64 s0, 0xc2ce8ed0, v92
	s_delay_alu instid0(VALU_DEP_2) | instskip(NEXT) | instid1(VALU_DEP_2)
	v_pk_fma_f32 v[28:29], v[42:43], v[20:21], v[28:29]
	v_cndmask_b32_e64 v37, 0, v106, s0
	v_cmp_nlt_f32_e64 s0, 0x42b17218, v55
	s_wait_dscnt 0x6
	v_pk_mul_f32 v[42:43], v[84:85], v[56:57] op_sel_hi:[0,1]
	s_wait_dscnt 0x3
	v_fma_f32 v55, v68, v28, 0
	v_cndmask_b32_e64 v44, 0x7f800000, v98, s0
	v_cmp_nlt_f32_e64 s0, 0x42b17218, v85
	s_delay_alu instid0(VALU_DEP_3) | instskip(NEXT) | instid1(VALU_DEP_2)
	v_fmac_f32_e32 v55, v69, v29
	v_cndmask_b32_e64 v45, 0x7f800000, v99, s0
	v_cmp_nlt_f32_e64 s0, 0x42b17218, v86
	s_delay_alu instid0(VALU_DEP_2) | instskip(NEXT) | instid1(VALU_DEP_2)
	v_pk_fma_f32 v[30:31], v[32:33], v[44:45], v[30:31]
	v_cndmask_b32_e64 v20, 0x7f800000, v100, s0
	v_cmp_nlt_f32_e64 s0, 0x42b17218, v87
	s_delay_alu instid0(VALU_DEP_3) | instskip(NEXT) | instid1(VALU_DEP_2)
	v_fmac_f32_e32 v55, v70, v30
	v_cndmask_b32_e64 v21, 0x7f800000, v101, s0
	v_cmp_ngt_f32_e64 s0, 0xc2ce8ed0, v93
	s_delay_alu instid0(VALU_DEP_3) | instskip(NEXT) | instid1(VALU_DEP_3)
	v_fmac_f32_e32 v55, v71, v31
	v_pk_fma_f32 v[32:33], v[46:47], v[20:21], v[42:43]
	s_delay_alu instid0(VALU_DEP_3) | instskip(SKIP_4) | instid1(VALU_DEP_3)
	v_cndmask_b32_e64 v68, 0, v107, s0
	v_cmp_nlt_f32_e64 s0, 0x42b17218, v88
	v_pk_mul_f32 v[20:21], v[84:85], v[58:59] op_sel_hi:[0,1]
	s_wait_dscnt 0x2
	v_pk_mul_f32 v[46:47], v[72:73], v[32:33]
	v_cndmask_b32_e64 v44, 0x7f800000, v102, s0
	v_cmp_nlt_f32_e64 s0, 0x42b17218, v89
	s_delay_alu instid0(VALU_DEP_1) | instskip(SKIP_1) | instid1(VALU_DEP_2)
	v_cndmask_b32_e64 v45, 0x7f800000, v103, s0
	v_cmp_ngt_f32_e64 s0, 0xc2ce8ed0, v94
	v_pk_fma_f32 v[42:43], v[26:27], v[44:45], v[20:21]
	s_delay_alu instid0(VALU_DEP_2) | instskip(SKIP_2) | instid1(VALU_DEP_4)
	v_dual_cndmask_b32 v58, 0, v108, s0 :: v_dual_add_f32 v44, v55, v46
	v_cmp_nlt_f32_e64 s0, 0x42b17218, v90
	v_pk_mul_f32 v[20:21], v[84:85], v[60:61] op_sel_hi:[0,1]
	v_pk_mul_f32 v[26:27], v[74:75], v[42:43]
	s_delay_alu instid0(VALU_DEP_4) | instskip(NEXT) | instid1(VALU_DEP_4)
	v_add_f32_e32 v47, v44, v47
	v_cndmask_b32_e64 v56, 0x7f800000, v104, s0
	v_cmp_nlt_f32_e64 s0, 0x42b17218, v91
	s_delay_alu instid0(VALU_DEP_3) | instskip(NEXT) | instid1(VALU_DEP_2)
	v_add_f32_e32 v26, v47, v26
	v_cndmask_b32_e64 v57, 0x7f800000, v105, s0
	v_cmp_ngt_f32_e64 s0, 0xc2ce8ed0, v95
	s_delay_alu instid0(VALU_DEP_2) | instskip(NEXT) | instid1(VALU_DEP_2)
	v_pk_fma_f32 v[44:45], v[22:23], v[56:57], v[20:21]
	v_cndmask_b32_e64 v55, 0, v109, s0
	v_cmp_nlt_f32_e64 s0, 0x42b17218, v92
	v_pk_mul_f32 v[20:21], v[84:85], v[62:63] op_sel_hi:[0,1]
	s_wait_dscnt 0x1
	v_pk_mul_f32 v[22:23], v[76:77], v[44:45]
	s_delay_alu instid0(VALU_DEP_3) | instskip(SKIP_2) | instid1(VALU_DEP_2)
	v_cndmask_b32_e64 v46, 0x7f800000, v37, s0
	v_cmp_nlt_f32_e64 s0, 0x42b17218, v93
	v_add_f32_e32 v37, v26, v27
	v_cndmask_b32_e64 v47, 0x7f800000, v68, s0
	v_cmp_ngt_f32_e64 s0, 0xc2ce8ed0, v96
	s_delay_alu instid0(VALU_DEP_3) | instskip(NEXT) | instid1(VALU_DEP_3)
	v_add_f32_e32 v22, v37, v22
	v_pk_fma_f32 v[26:27], v[24:25], v[46:47], v[20:21]
	s_delay_alu instid0(VALU_DEP_3) | instskip(SKIP_2) | instid1(VALU_DEP_4)
	v_cndmask_b32_e64 v59, 0, v110, s0
	v_cmp_nlt_f32_e64 s0, 0x42b17218, v94
	v_pk_mul_f32 v[20:21], v[84:85], v[64:65] op_sel_hi:[0,1]
	v_pk_mul_f32 v[24:25], v[78:79], v[26:27]
	s_delay_alu instid0(VALU_DEP_3) | instskip(SKIP_1) | instid1(VALU_DEP_1)
	v_cndmask_b32_e64 v56, 0x7f800000, v58, s0
	v_cmp_nlt_f32_e64 s0, 0x42b17218, v95
	v_cndmask_b32_e64 v57, 0x7f800000, v55, s0
	v_cmp_ngt_f32_e64 s0, 0xc2ce8ed0, v97
	s_delay_alu instid0(VALU_DEP_2) | instskip(NEXT) | instid1(VALU_DEP_2)
	v_pk_fma_f32 v[20:21], v[18:19], v[56:57], v[20:21]
	v_cndmask_b32_e64 v37, 0, v111, s0
	v_add_f32_e32 v23, v22, v23
	v_cmp_nlt_f32_e64 s0, 0x42b17218, v96
	v_pk_mul_f32 v[18:19], v[84:85], v[66:67] op_sel_hi:[0,1]
	s_wait_dscnt 0x0
	v_pk_mul_f32 v[46:47], v[80:81], v[20:21]
	v_add_f32_e32 v24, v23, v24
	v_cndmask_b32_e64 v22, 0x7f800000, v59, s0
	v_cmp_nlt_f32_e64 s0, 0x42b17218, v97
	s_delay_alu instid0(VALU_DEP_3) | instskip(NEXT) | instid1(VALU_DEP_2)
	v_add_f32_e32 v24, v24, v25
	v_cndmask_b32_e64 v23, 0x7f800000, v37, s0
	s_ashr_i64 s[0:1], s[12:13], 29
	s_delay_alu instid0(VALU_DEP_2) | instskip(NEXT) | instid1(VALU_DEP_2)
	v_add_f32_e32 v24, v24, v46
	v_pk_fma_f32 v[22:23], v[48:49], v[22:23], v[18:19]
	s_delay_alu instid0(VALU_DEP_2) | instskip(NEXT) | instid1(VALU_DEP_2)
	v_add_f32_e32 v24, v24, v47
	v_pk_mul_f32 v[18:19], v[82:83], v[22:23]
	s_delay_alu instid0(VALU_DEP_1) | instskip(SKIP_1) | instid1(VALU_DEP_2)
	v_add_f32_e32 v18, v24, v18
	v_add_nc_u64_e32 v[24:25], s[0:1], v[0:1]
	v_add_f32_e32 v18, v18, v19
	global_store_b32 v[24:25], v18, off
	s_wait_storecnt 0x0
	s_barrier_signal -1
	s_barrier_wait -1
	s_wait_xcnt 0x0
	s_and_saveexec_b32 s0, vcc_lo
	s_cbranch_execz .LBB6_14
; %bb.13:
	v_mad_nc_i64_i32 v[18:19], s8, 12, v[40:41]
	v_mad_nc_i64_i32 v[24:25], s2, 12, v[38:39]
	global_load_b32 v37, v[18:19], off
	global_load_b32 v46, v[24:25], off
	s_wait_loadcnt 0x1
	ds_store_b32 v36, v37
	s_wait_loadcnt 0x0
	ds_store_b32 v54, v46
.LBB6_14:
	s_or_b32 exec_lo, exec_lo, s0
	v_add_nc_u64_e32 v[24:25], s[16:17], v[50:51]
	s_wait_dscnt 0x0
	s_barrier_signal -1
	s_barrier_wait -1
	s_bfe_i64 s[6:7], s[6:7], 0x200000
	s_mov_b32 s1, exec_lo
	global_load_b32 v37, v[24:25], off
	s_wait_loadcnt 0x0
	v_cmpx_ge_f32_e32 0x41a00000, v37
	s_cbranch_execz .LBB6_16
; %bb.15:
	v_mul_f32_e32 v18, 0x3fb8aa3b, v37
	v_cmp_ngt_f32_e64 s0, 0xc2ce8ed0, v37
	s_delay_alu instid0(VALU_DEP_2) | instskip(SKIP_1) | instid1(VALU_DEP_2)
	v_rndne_f32_e32 v19, v18
	v_fma_f32 v46, 0x3fb8aa3b, v37, -v18
	v_sub_f32_e32 v18, v18, v19
	s_delay_alu instid0(VALU_DEP_2) | instskip(SKIP_1) | instid1(VALU_DEP_2)
	v_fmamk_f32 v46, v37, 0x32a5705f, v46
	v_cvt_i32_f32_e32 v19, v19
	v_add_f32_e32 v18, v18, v46
	s_delay_alu instid0(VALU_DEP_1) | instskip(SKIP_1) | instid1(TRANS32_DEP_1)
	v_exp_f32_e32 v18, v18
	v_nop
	v_ldexp_f32 v18, v18, v19
	s_delay_alu instid0(VALU_DEP_1) | instskip(SKIP_1) | instid1(VALU_DEP_1)
	v_cndmask_b32_e64 v18, 0, v18, s0
	v_cmp_nlt_f32_e64 s0, 0x42b17218, v37
	v_cndmask_b32_e64 v55, 0x7f800000, v18, s0
	s_delay_alu instid0(VALU_DEP_1) | instskip(NEXT) | instid1(VALU_DEP_1)
	v_add_f32_e32 v37, 1.0, v55
	v_cvt_f64_f32_e32 v[18:19], v37
	s_delay_alu instid0(VALU_DEP_1) | instskip(SKIP_1) | instid1(VALU_DEP_1)
	v_frexp_exp_i32_f64_e32 v18, v[18:19]
	v_frexp_mant_f32_e32 v19, v37
	v_cmp_gt_f32_e64 s0, 0x3f2aaaab, v19
	s_delay_alu instid0(VALU_DEP_1) | instskip(SKIP_2) | instid1(VALU_DEP_1)
	v_subrev_co_ci_u32_e64 v50, null, 0, v18, s0
	v_add_f32_e32 v18, -1.0, v37
	s_mov_b32 s0, 0x3e9b6dac
	v_dual_sub_f32 v46, v18, v37 :: v_dual_sub_nc_u32 v19, 0, v50
	s_delay_alu instid0(VALU_DEP_1) | instskip(NEXT) | instid1(VALU_DEP_1)
	v_ldexp_f32 v37, v37, v19
	v_dual_add_f32 v47, 1.0, v37 :: v_dual_add_f32 v49, -1.0, v37
	v_sub_f32_e32 v18, v55, v18
	s_delay_alu instid0(VALU_DEP_4) | instskip(NEXT) | instid1(VALU_DEP_1)
	v_add_f32_e32 v46, 1.0, v46
	v_dual_add_f32 v18, v18, v46 :: v_dual_add_f32 v46, -1.0, v47
	s_delay_alu instid0(VALU_DEP_1) | instskip(NEXT) | instid1(VALU_DEP_2)
	v_ldexp_f32 v18, v18, v19
	v_dual_sub_f32 v19, v37, v46 :: v_dual_add_f32 v46, 1.0, v49
	s_delay_alu instid0(VALU_DEP_1) | instskip(NEXT) | instid1(VALU_DEP_1)
	v_dual_add_f32 v48, v18, v19 :: v_dual_sub_f32 v19, v37, v46
	v_add_f32_e32 v37, v47, v48
	s_delay_alu instid0(VALU_DEP_1) | instskip(NEXT) | instid1(VALU_DEP_2)
	v_rcp_f32_e32 v56, v37
	v_dual_add_f32 v51, v18, v19 :: v_dual_sub_f32 v18, v47, v37
	s_delay_alu instid0(VALU_DEP_1)
	v_dual_add_f32 v19, v49, v51 :: v_dual_add_f32 v58, v48, v18
	s_delay_alu instid0(TRANS32_DEP_1) | instid1(VALU_DEP_1)
	v_dual_mul_f32 v57, v19, v56 :: v_dual_sub_f32 v59, v49, v19
	s_delay_alu instid0(VALU_DEP_1) | instskip(NEXT) | instid1(VALU_DEP_1)
	v_mul_f32_e32 v46, v37, v57
	v_fma_f32 v48, v57, v37, -v46
	s_delay_alu instid0(VALU_DEP_1) | instskip(NEXT) | instid1(VALU_DEP_1)
	v_fmac_f32_e32 v48, v57, v58
	v_add_f32_e32 v18, v46, v48
	s_delay_alu instid0(VALU_DEP_1) | instskip(NEXT) | instid1(VALU_DEP_1)
	v_dual_sub_f32 v47, v19, v18 :: v_dual_mov_b32 v49, v18
	v_pk_add_f32 v[18:19], v[18:19], v[46:47] neg_lo:[0,1] neg_hi:[0,1]
	v_add_f32_e32 v46, v51, v59
	s_delay_alu instid0(VALU_DEP_2) | instskip(NEXT) | instid1(VALU_DEP_1)
	v_pk_add_f32 v[18:19], v[18:19], v[48:49] neg_lo:[0,1] neg_hi:[0,1]
	v_add_f32_e32 v19, v46, v19
	s_delay_alu instid0(VALU_DEP_1) | instskip(NEXT) | instid1(VALU_DEP_1)
	v_add_f32_e32 v51, v18, v19
	v_add_f32_e32 v19, v47, v51
	s_delay_alu instid0(VALU_DEP_1) | instskip(NEXT) | instid1(VALU_DEP_1)
	v_mul_f32_e32 v59, v56, v19
	v_mul_f32_e32 v48, v37, v59
	s_delay_alu instid0(VALU_DEP_1) | instskip(NEXT) | instid1(VALU_DEP_1)
	v_fma_f32 v46, v59, v37, -v48
	v_fmac_f32_e32 v46, v59, v58
	s_delay_alu instid0(VALU_DEP_1) | instskip(NEXT) | instid1(VALU_DEP_1)
	v_dual_add_f32 v18, v48, v46 :: v_dual_sub_f32 v37, v47, v19
	v_dual_mov_b32 v47, v18 :: v_dual_add_f32 v37, v51, v37
	v_sub_f32_e32 v49, v19, v18
	s_delay_alu instid0(VALU_DEP_1) | instskip(NEXT) | instid1(VALU_DEP_1)
	v_pk_add_f32 v[18:19], v[18:19], v[48:49] neg_lo:[0,1] neg_hi:[0,1]
	v_pk_add_f32 v[18:19], v[18:19], v[46:47] neg_lo:[0,1] neg_hi:[0,1]
	v_cvt_f32_i32_e32 v46, v50
	s_delay_alu instid0(VALU_DEP_2) | instskip(NEXT) | instid1(VALU_DEP_1)
	v_add_f32_e32 v19, v37, v19
	v_add_f32_e32 v18, v18, v19
	s_delay_alu instid0(VALU_DEP_1) | instskip(NEXT) | instid1(VALU_DEP_1)
	v_add_f32_e32 v18, v49, v18
	v_dual_add_f32 v37, v57, v59 :: v_dual_mul_f32 v18, v56, v18
	s_delay_alu instid0(VALU_DEP_1) | instskip(NEXT) | instid1(VALU_DEP_1)
	v_sub_f32_e32 v19, v37, v57
	v_sub_f32_e32 v19, v59, v19
	s_delay_alu instid0(VALU_DEP_1) | instskip(NEXT) | instid1(VALU_DEP_1)
	v_dual_add_f32 v51, v19, v18 :: v_dual_mov_b32 v18, 0x3f317218
	v_add_f32_e32 v48, v37, v51
	s_delay_alu instid0(VALU_DEP_1) | instskip(NEXT) | instid1(VALU_DEP_1)
	v_mul_f32_e32 v19, v48, v48
	v_fmaak_f32 v49, s0, v19, 0x3ecc95a3
	v_mul_f32_e32 v47, v48, v19
	v_cmp_neq_f32_e64 s0, 0x7f800000, v55
	s_delay_alu instid0(VALU_DEP_3) | instskip(NEXT) | instid1(VALU_DEP_1)
	v_fmaak_f32 v19, v19, v49, 0x3f2aaada
	v_pk_mul_f32 v[18:19], v[46:47], v[18:19]
	v_ldexp_f32 v47, v48, 1
	v_sub_f32_e32 v37, v48, v37
	s_delay_alu instid0(VALU_DEP_3) | instskip(SKIP_1) | instid1(VALU_DEP_2)
	v_fma_f32 v49, 0x3f317218, v46, -v18
	v_mov_b32_e32 v50, v18
	v_fmamk_f32 v46, v46, 0xb102e308, v49
	s_delay_alu instid0(VALU_DEP_1) | instskip(NEXT) | instid1(VALU_DEP_1)
	v_pk_add_f32 v[48:49], v[18:19], v[46:47]
	v_dual_sub_f32 v47, v49, v47 :: v_dual_sub_f32 v37, v51, v37
	s_delay_alu instid0(VALU_DEP_1) | instskip(NEXT) | instid1(VALU_DEP_2)
	v_dual_mov_b32 v62, v49 :: v_dual_sub_f32 v47, v19, v47
	v_ldexp_f32 v37, v37, 1
	s_delay_alu instid0(VALU_DEP_4) | instskip(NEXT) | instid1(VALU_DEP_2)
	v_pk_add_f32 v[18:19], v[48:49], v[18:19] neg_lo:[0,1] neg_hi:[0,1]
	v_dual_add_f32 v51, v37, v47 :: v_dual_mov_b32 v47, v48
	s_delay_alu instid0(VALU_DEP_1) | instskip(NEXT) | instid1(VALU_DEP_1)
	v_pk_add_f32 v[56:57], v[48:49], v[50:51]
	v_mov_b32_e32 v19, v57
	s_delay_alu instid0(VALU_DEP_1) | instskip(SKIP_1) | instid1(VALU_DEP_2)
	v_pk_add_f32 v[58:59], v[46:47], v[18:19]
	v_pk_add_f32 v[18:19], v[46:47], v[18:19] neg_lo:[0,1] neg_hi:[0,1]
	v_dual_mov_b32 v50, v59 :: v_dual_mov_b32 v19, v59
	s_delay_alu instid0(VALU_DEP_1) | instskip(SKIP_1) | instid1(VALU_DEP_2)
	v_pk_add_f32 v[60:61], v[50:51], v[48:49] neg_lo:[0,1] neg_hi:[0,1]
	v_dual_mov_b32 v58, v57 :: v_dual_mov_b32 v49, v48
	v_dual_mov_b32 v48, v51 :: v_dual_mov_b32 v63, v60
	v_mov_b32_e32 v37, v60
	s_delay_alu instid0(VALU_DEP_2) | instskip(NEXT) | instid1(VALU_DEP_2)
	v_pk_add_f32 v[60:61], v[58:59], v[62:63] neg_lo:[0,1] neg_hi:[0,1]
	v_pk_add_f32 v[46:47], v[56:57], v[36:37] neg_lo:[0,1] neg_hi:[0,1]
	v_mov_b32_e32 v46, v18
	s_delay_alu instid0(VALU_DEP_3) | instskip(NEXT) | instid1(VALU_DEP_1)
	v_pk_add_f32 v[48:49], v[48:49], v[60:61] neg_lo:[0,1] neg_hi:[0,1]
	v_pk_add_f32 v[46:47], v[46:47], v[48:49]
	s_delay_alu instid0(VALU_DEP_1) | instskip(NEXT) | instid1(VALU_DEP_1)
	v_mov_b32_e32 v56, v47
	v_pk_add_f32 v[56:57], v[46:47], v[56:57]
	s_delay_alu instid0(VALU_DEP_1) | instskip(NEXT) | instid1(VALU_DEP_1)
	v_pk_add_f32 v[50:51], v[50:51], v[56:57]
	v_dual_mov_b32 v49, v56 :: v_dual_mov_b32 v47, v50
	s_delay_alu instid0(VALU_DEP_1) | instskip(NEXT) | instid1(VALU_DEP_1)
	v_pk_add_f32 v[58:59], v[46:47], v[18:19] neg_lo:[0,1] neg_hi:[0,1]
	v_sub_f32_e32 v19, v46, v58
	s_delay_alu instid0(VALU_DEP_2) | instskip(NEXT) | instid1(VALU_DEP_2)
	v_pk_add_f32 v[46:47], v[48:49], v[58:59] neg_lo:[0,1] neg_hi:[0,1]
	v_sub_f32_e32 v18, v18, v19
	s_delay_alu instid0(VALU_DEP_1) | instskip(NEXT) | instid1(VALU_DEP_1)
	v_add_f32_e32 v18, v46, v18
	v_add_f32_e32 v18, v18, v47
	s_delay_alu instid0(VALU_DEP_1) | instskip(NEXT) | instid1(VALU_DEP_1)
	v_add_f32_e32 v18, v50, v18
	v_cndmask_b32_e64 v18, 0x7f800000, v18, s0
	v_cmp_gt_f32_e64 s0, 0x33800000, v55
	s_delay_alu instid0(VALU_DEP_1)
	v_cndmask_b32_e64 v37, v18, v55, s0
.LBB6_16:
	s_or_b32 exec_lo, exec_lo, s1
	v_add_nc_u64_e32 v[18:19], s[14:15], v[52:53]
	s_delay_alu instid0(VALU_DEP_2)
	v_dual_mul_f32 v51, v37, v14 :: v_dual_mov_b32 v52, 0
	v_dual_mul_f32 v53, v37, v15 :: v_dual_mul_f32 v55, v37, v16
	v_dual_mul_f32 v91, v37, v7 :: v_dual_mul_f32 v92, v37, v8
	global_load_b32 v50, v[18:19], off
	v_dual_mul_f32 v95, v37, v3 :: v_dual_mul_f32 v96, v37, v4
	v_dual_mul_f32 v97, v37, v5 :: v_dual_mul_f32 v84, 0x3fb8aa3b, v51
	;; [unrolled: 1-line block ×7, first 2 shown]
	v_fma_f32 v112, 0x3fb8aa3b, v51, -v84
	v_rndne_f32_e32 v113, v84
	v_dual_mul_f32 v87, v37, v11 :: v_dual_mul_f32 v88, v37, v12
	v_dual_mul_f32 v93, v37, v9 :: v_dual_mul_f32 v94, v37, v2
	;; [unrolled: 1-line block ×4, first 2 shown]
	v_fma_f32 v114, 0x3fb8aa3b, v53, -v98
	v_rndne_f32_e32 v115, v98
	v_rndne_f32_e32 v131, v106
	v_fma_f32 v139, 0x3fb8aa3b, v97, -v111
	v_fmac_f32_e32 v112, 0x32a5705f, v51
	s_delay_alu instid0(VALU_DEP_4)
	v_dual_sub_f32 v84, v84, v113 :: v_dual_sub_f32 v98, v98, v115
	v_dual_mul_f32 v102, 0x3fb8aa3b, v87 :: v_dual_mul_f32 v103, 0x3fb8aa3b, v88
	v_dual_mul_f32 v108, 0x3fb8aa3b, v93 :: v_dual_mul_f32 v109, 0x3fb8aa3b, v94
	v_fma_f32 v116, 0x3fb8aa3b, v55, -v99
	v_rndne_f32_e32 v117, v99
	v_fma_f32 v118, 0x3fb8aa3b, v85, -v100
	v_rndne_f32_e32 v119, v100
	v_fma_f32 v126, 0x3fb8aa3b, v89, -v104
	v_rndne_f32_e32 v127, v104
	v_fma_f32 v130, 0x3fb8aa3b, v91, -v106
	v_fma_f32 v137, 0x3fb8aa3b, v95, -v110
	v_rndne_f32_e32 v143, v111
	v_fmac_f32_e32 v114, 0x32a5705f, v53
	v_dual_fmac_f32 v139, 0x32a5705f, v97 :: v_dual_sub_f32 v106, v106, v131
	v_add_f32_e32 v84, v84, v112
	ds_load_b128 v[46:49], v52
	ds_load_b128 v[56:59], v52 offset:16
	ds_load_b128 v[60:63], v52 offset:32
	;; [unrolled: 1-line block ×7, first 2 shown]
	v_dual_mul_f32 v52, 0x3fb8aa3b, v96 :: v_dual_sub_f32 v99, v99, v117
	v_rndne_f32_e32 v121, v101
	v_fma_f32 v124, 0x3fb8aa3b, v88, -v103
	v_fma_f32 v128, 0x3fb8aa3b, v90, -v105
	;; [unrolled: 1-line block ×3, first 2 shown]
	v_rndne_f32_e32 v133, v107
	v_rndne_f32_e32 v140, v109
	;; [unrolled: 1-line block ×3, first 2 shown]
	v_fmac_f32_e32 v116, 0x32a5705f, v55
	v_fmac_f32_e32 v118, 0x32a5705f, v85
	v_dual_fmac_f32 v126, 0x32a5705f, v89 :: v_dual_sub_f32 v111, v111, v143
	v_fmac_f32_e32 v137, 0x32a5705f, v95
	v_dual_sub_f32 v100, v100, v119 :: v_dual_sub_f32 v110, v110, v141
	v_dual_sub_f32 v104, v104, v127 :: v_dual_add_f32 v98, v98, v114
	v_exp_f32_e32 v84, v84
	v_fma_f32 v120, 0x3fb8aa3b, v86, -v101
	v_rndne_f32_e32 v125, v103
	v_cvt_i32_f32_e32 v113, v113
	v_fma_f32 v136, 0x3fb8aa3b, v94, -v109
	v_dual_fmac_f32 v124, 0x32a5705f, v88 :: v_dual_sub_f32 v107, v107, v133
	v_dual_fmac_f32 v132, 0x32a5705f, v92 :: v_dual_add_f32 v111, v111, v139
	v_dual_sub_f32 v101, v101, v121 :: v_dual_fmac_f32 v128, 0x32a5705f, v90
	v_add_f32_e32 v99, v99, v116
	v_dual_sub_f32 v109, v109, v140 :: v_dual_add_f32 v100, v100, v118
	s_delay_alu instid0(VALU_DEP_4)
	v_add_f32_e32 v107, v107, v132
	v_exp_f32_e32 v98, v98
	v_dual_fmac_f32 v120, 0x32a5705f, v86 :: v_dual_sub_f32 v103, v103, v125
	v_fmac_f32_e32 v130, 0x32a5705f, v91
	v_cvt_i32_f32_e32 v115, v115
	v_ldexp_f32 v84, v84, v113
	v_cmp_ngt_f32_e64 s0, 0xc2ce8ed0, v51
	v_fma_f32 v122, 0x3fb8aa3b, v87, -v102
	v_rndne_f32_e32 v123, v102
	v_exp_f32_e32 v99, v99
	v_exp_f32_e32 v100, v100
	v_fma_f32 v138, 0x3fb8aa3b, v96, -v52
	v_rndne_f32_e32 v142, v52
	v_cvt_i32_f32_e32 v117, v117
	v_cvt_i32_f32_e32 v119, v119
	v_dual_add_f32 v101, v101, v120 :: v_dual_add_f32 v106, v106, v130
	v_cndmask_b32_e64 v84, 0, v84, s0
	v_ldexp_f32 v98, v98, v115
	v_cmp_ngt_f32_e64 s0, 0xc2ce8ed0, v53
	v_rndne_f32_e32 v129, v105
	v_rndne_f32_e32 v135, v108
	v_fmac_f32_e32 v122, 0x32a5705f, v87
	v_dual_sub_f32 v102, v102, v123 :: v_dual_sub_f32 v52, v52, v142
	v_fmac_f32_e32 v138, 0x32a5705f, v96
	v_ldexp_f32 v99, v99, v117
	v_ldexp_f32 v100, v100, v119
	v_cndmask_b32_e64 v98, 0, v98, s0
	v_cmp_ngt_f32_e64 s0, 0xc2ce8ed0, v55
	v_fma_f32 v134, 0x3fb8aa3b, v93, -v108
	v_dual_sub_f32 v105, v105, v129 :: v_dual_sub_f32 v108, v108, v135
	v_add_f32_e32 v102, v102, v122
	v_exp_f32_e32 v101, v101
	v_cvt_i32_f32_e32 v121, v121
	v_dual_add_f32 v52, v52, v138 :: v_dual_cndmask_b32 v99, 0, v99, s0
	v_cmp_ngt_f32_e64 s0, 0xc2ce8ed0, v85
	v_dual_fmac_f32 v134, 0x32a5705f, v93 :: v_dual_add_f32 v103, v103, v124
	v_exp_f32_e32 v102, v102
	v_cvt_i32_f32_e32 v123, v123
	v_ldexp_f32 v101, v101, v121
	v_cndmask_b32_e64 v100, 0, v100, s0
	v_cmp_ngt_f32_e64 s0, 0xc2ce8ed0, v86
	v_dual_fmac_f32 v136, 0x32a5705f, v94 :: v_dual_add_f32 v105, v105, v128
	v_add_f32_e32 v104, v104, v126
	v_exp_f32_e32 v103, v103
	v_cvt_i32_f32_e32 v125, v125
	v_ldexp_f32 v102, v102, v123
	v_cndmask_b32_e64 v101, 0, v101, s0
	v_cmp_ngt_f32_e64 s0, 0xc2ce8ed0, v87
	v_add_f32_e32 v109, v109, v136
	v_exp_f32_e32 v104, v104
	v_cvt_i32_f32_e32 v127, v127
	v_ldexp_f32 v103, v103, v125
	v_cndmask_b32_e64 v102, 0, v102, s0
	v_cmp_ngt_f32_e64 s0, 0xc2ce8ed0, v88
	v_exp_f32_e32 v105, v105
	v_cvt_i32_f32_e32 v129, v129
	v_ldexp_f32 v104, v104, v127
	v_exp_f32_e32 v106, v106
	v_cndmask_b32_e64 v103, 0, v103, s0
	v_cmp_ngt_f32_e64 s0, 0xc2ce8ed0, v89
	v_cvt_i32_f32_e32 v131, v131
	v_ldexp_f32 v105, v105, v129
	v_exp_f32_e32 v107, v107
	v_exp_f32_e32 v52, v52
	v_cndmask_b32_e64 v104, 0, v104, s0
	v_cmp_ngt_f32_e64 s0, 0xc2ce8ed0, v90
	v_ldexp_f32 v106, v106, v131
	v_cvt_i32_f32_e32 v133, v133
	v_cvt_i32_f32_e32 v142, v142
	v_dual_add_f32 v108, v108, v134 :: v_dual_add_f32 v110, v110, v137
	v_cndmask_b32_e64 v105, 0, v105, s0
	v_cmp_ngt_f32_e64 s0, 0xc2ce8ed0, v91
	v_ldexp_f32 v107, v107, v133
	v_ldexp_f32 v112, v52, v142
	v_exp_f32_e32 v108, v108
	v_cvt_i32_f32_e32 v135, v135
	v_cndmask_b32_e64 v106, 0, v106, s0
	v_cmp_nlt_f32_e64 s0, 0x42b17218, v51
	v_exp_f32_e32 v109, v109
	v_cvt_i32_f32_e32 v140, v140
	v_exp_f32_e32 v110, v110
	v_ldexp_f32 v108, v108, v135
	v_cvt_i32_f32_e32 v141, v141
	v_exp_f32_e32 v111, v111
	v_cvt_i32_f32_e32 v143, v143
	v_ldexp_f32 v109, v109, v140
	s_delay_alu instid0(TRANS32_DEP_2) | instid1(VALU_DEP_3)
	v_ldexp_f32 v110, v110, v141
	s_delay_alu instid0(TRANS32_DEP_1) | instid1(VALU_DEP_3)
	v_ldexp_f32 v111, v111, v143
	s_wait_loadcnt 0x0
	v_mul_f32_e32 v52, v37, v50
	v_cndmask_b32_e64 v50, 0x7f800000, v84, s0
	v_cmp_nlt_f32_e64 s0, 0x42b17218, v53
	s_delay_alu instid0(VALU_DEP_1) | instskip(SKIP_1) | instid1(VALU_DEP_1)
	v_cndmask_b32_e64 v51, 0x7f800000, v98, s0
	v_cmp_ngt_f32_e64 s0, 0xc2ce8ed0, v92
	v_cndmask_b32_e64 v37, 0, v107, s0
	v_cmp_nlt_f32_e64 s0, 0x42b17218, v55
	s_wait_dscnt 0x7
	v_pk_mul_f32 v[46:47], v[52:53], v[46:47] op_sel_hi:[0,1]
	s_delay_alu instid0(VALU_DEP_2) | instskip(SKIP_1) | instid1(VALU_DEP_3)
	v_cndmask_b32_e64 v84, 0x7f800000, v99, s0
	v_cmp_nlt_f32_e64 s0, 0x42b17218, v85
	v_pk_fma_f32 v[50:51], v[28:29], v[50:51], v[46:47]
	v_pk_mul_f32 v[46:47], v[52:53], v[48:49] op_sel_hi:[0,1]
	s_delay_alu instid0(VALU_DEP_3) | instskip(SKIP_3) | instid1(VALU_DEP_3)
	v_cndmask_b32_e64 v85, 0x7f800000, v100, s0
	v_cmp_nlt_f32_e64 s0, 0x42b17218, v86
	s_wait_dscnt 0x3
	v_fma_f32 v53, v68, v50, 0
	v_pk_fma_f32 v[48:49], v[30:31], v[84:85], v[46:47]
	s_delay_alu instid0(VALU_DEP_3) | instskip(SKIP_1) | instid1(VALU_DEP_4)
	v_cndmask_b32_e64 v28, 0x7f800000, v101, s0
	v_cmp_nlt_f32_e64 s0, 0x42b17218, v87
	v_pk_mul_f32 v[56:57], v[52:53], v[56:57] op_sel_hi:[0,1]
	v_fmac_f32_e32 v53, v69, v51
	s_delay_alu instid0(VALU_DEP_3) | instskip(SKIP_1) | instid1(VALU_DEP_3)
	v_cndmask_b32_e64 v29, 0x7f800000, v102, s0
	v_cmp_ngt_f32_e64 s0, 0xc2ce8ed0, v93
	v_fmac_f32_e32 v53, v70, v48
	s_delay_alu instid0(VALU_DEP_3) | instskip(NEXT) | instid1(VALU_DEP_3)
	v_pk_fma_f32 v[46:47], v[32:33], v[28:29], v[56:57]
	v_cndmask_b32_e64 v55, 0, v108, s0
	v_cmp_nlt_f32_e64 s0, 0x42b17218, v88
	s_wait_dscnt 0x2
	s_delay_alu instid0(VALU_DEP_3) | instskip(NEXT) | instid1(VALU_DEP_2)
	v_pk_mul_f32 v[56:57], v[72:73], v[46:47]
	v_cndmask_b32_e64 v30, 0x7f800000, v103, s0
	v_cmp_nlt_f32_e64 s0, 0x42b17218, v89
	s_delay_alu instid0(VALU_DEP_1) | instskip(SKIP_1) | instid1(VALU_DEP_1)
	v_cndmask_b32_e64 v31, 0x7f800000, v104, s0
	v_cmp_ngt_f32_e64 s0, 0xc2ce8ed0, v94
	v_cndmask_b32_e64 v68, 0, v109, s0
	v_cmp_nlt_f32_e64 s0, 0x42b17218, v90
	v_pk_mul_f32 v[28:29], v[52:53], v[58:59] op_sel_hi:[0,1]
	v_fmac_f32_e32 v53, v71, v49
	s_delay_alu instid0(VALU_DEP_3) | instskip(SKIP_1) | instid1(VALU_DEP_4)
	v_cndmask_b32_e64 v58, 0x7f800000, v105, s0
	v_cmp_nlt_f32_e64 s0, 0x42b17218, v91
	v_pk_fma_f32 v[32:33], v[42:43], v[30:31], v[28:29]
	s_delay_alu instid0(VALU_DEP_4) | instskip(NEXT) | instid1(VALU_DEP_3)
	v_pk_mul_f32 v[28:29], v[52:53], v[60:61] op_sel_hi:[0,1]
	v_cndmask_b32_e64 v59, 0x7f800000, v106, s0
	v_cmp_ngt_f32_e64 s0, 0xc2ce8ed0, v95
	v_add_f32_e32 v42, v53, v56
	v_pk_mul_f32 v[30:31], v[74:75], v[32:33]
	s_delay_alu instid0(VALU_DEP_4) | instskip(NEXT) | instid1(VALU_DEP_4)
	v_pk_fma_f32 v[28:29], v[44:45], v[58:59], v[28:29]
	v_cndmask_b32_e64 v53, 0, v110, s0
	v_cmp_nlt_f32_e64 s0, 0x42b17218, v92
	v_add_f32_e32 v43, v42, v57
	s_wait_dscnt 0x1
	v_pk_mul_f32 v[56:57], v[76:77], v[28:29]
	v_pk_mul_f32 v[44:45], v[52:53], v[62:63] op_sel_hi:[0,1]
	v_cndmask_b32_e64 v42, 0x7f800000, v37, s0
	v_cmp_nlt_f32_e64 s0, 0x42b17218, v93
	v_add_f32_e32 v30, v43, v30
	s_delay_alu instid0(VALU_DEP_2) | instskip(SKIP_1) | instid1(VALU_DEP_3)
	v_cndmask_b32_e64 v43, 0x7f800000, v55, s0
	v_cmp_ngt_f32_e64 s0, 0xc2ce8ed0, v96
	v_add_f32_e32 v37, v30, v31
	s_delay_alu instid0(VALU_DEP_3) | instskip(NEXT) | instid1(VALU_DEP_3)
	v_pk_fma_f32 v[30:31], v[26:27], v[42:43], v[44:45]
	v_cndmask_b32_e64 v55, 0, v112, s0
	v_cmp_nlt_f32_e64 s0, 0x42b17218, v94
	s_delay_alu instid0(VALU_DEP_4) | instskip(SKIP_2) | instid1(VALU_DEP_4)
	v_add_f32_e32 v37, v37, v56
	v_pk_mul_f32 v[26:27], v[52:53], v[64:65] op_sel_hi:[0,1]
	v_pk_mul_f32 v[42:43], v[78:79], v[30:31]
	v_cndmask_b32_e64 v58, 0x7f800000, v68, s0
	v_cmp_nlt_f32_e64 s0, 0x42b17218, v95
	s_delay_alu instid0(VALU_DEP_1) | instskip(SKIP_2) | instid1(VALU_DEP_3)
	v_cndmask_b32_e64 v59, 0x7f800000, v53, s0
	v_cmp_ngt_f32_e64 s0, 0xc2ce8ed0, v97
	v_add_f32_e32 v37, v37, v57
	v_pk_fma_f32 v[26:27], v[20:21], v[58:59], v[26:27]
	s_delay_alu instid0(VALU_DEP_3) | instskip(SKIP_4) | instid1(VALU_DEP_3)
	v_cndmask_b32_e64 v45, 0, v111, s0
	v_cmp_nlt_f32_e64 s0, 0x42b17218, v96
	v_pk_mul_f32 v[20:21], v[52:53], v[66:67] op_sel_hi:[0,1]
	s_wait_dscnt 0x0
	v_pk_mul_f32 v[52:53], v[80:81], v[26:27]
	v_cndmask_b32_e64 v44, 0x7f800000, v55, s0
	v_cmp_nlt_f32_e64 s0, 0x42b17218, v97
	s_delay_alu instid0(VALU_DEP_1) | instskip(NEXT) | instid1(VALU_DEP_1)
	v_cndmask_b32_e64 v45, 0x7f800000, v45, s0
	v_pk_fma_f32 v[20:21], v[22:23], v[44:45], v[20:21]
	s_delay_alu instid0(VALU_DEP_1) | instskip(SKIP_1) | instid1(VALU_DEP_1)
	v_pk_mul_f32 v[22:23], v[82:83], v[20:21]
	v_add_f32_e32 v37, v37, v42
	v_add_f32_e32 v37, v37, v43
	v_mad_nc_i64_i32 v[42:43], s6, 12, v[0:1]
	s_delay_alu instid0(VALU_DEP_2) | instskip(NEXT) | instid1(VALU_DEP_1)
	v_add_f32_e32 v37, v37, v52
	v_add_f32_e32 v37, v37, v53
	s_delay_alu instid0(VALU_DEP_1) | instskip(NEXT) | instid1(VALU_DEP_1)
	v_add_f32_e32 v22, v37, v22
	v_add_f32_e32 v22, v22, v23
	global_store_b32 v[42:43], v22, off
	s_wait_storecnt 0x0
	s_barrier_signal -1
	s_barrier_wait -1
	s_wait_xcnt 0x0
	s_and_saveexec_b32 s0, vcc_lo
	s_cbranch_execz .LBB6_18
; %bb.17:
	v_lshl_add_u64 v[22:23], s[8:9], 4, v[40:41]
	v_lshl_add_u64 v[38:39], s[2:3], 4, v[38:39]
	global_load_b32 v37, v[22:23], off
	global_load_b32 v40, v[38:39], off
	s_wait_loadcnt 0x1
	ds_store_b32 v36, v37
	s_wait_loadcnt 0x0
	ds_store_b32 v54, v40
.LBB6_18:
	s_or_b32 exec_lo, exec_lo, s0
	v_add_nc_u64_e32 v[22:23], s[16:17], v[24:25]
	s_wait_dscnt 0x0
	s_barrier_signal -1
	s_barrier_wait -1
	s_mov_b32 s0, exec_lo
	global_load_b32 v22, v[22:23], off
	s_wait_loadcnt 0x0
	v_cmpx_ge_f32_e32 0x41a00000, v22
	s_cbranch_execz .LBB6_20
; %bb.19:
	v_mul_f32_e32 v23, 0x3fb8aa3b, v22
	v_cmp_ngt_f32_e32 vcc_lo, 0xc2ce8ed0, v22
	s_mov_b32 s1, 0x3e9b6dac
	s_delay_alu instid0(VALU_DEP_2) | instskip(SKIP_1) | instid1(VALU_DEP_2)
	v_rndne_f32_e32 v24, v23
	v_fma_f32 v25, 0x3fb8aa3b, v22, -v23
	v_sub_f32_e32 v23, v23, v24
	s_delay_alu instid0(VALU_DEP_2) | instskip(SKIP_1) | instid1(VALU_DEP_2)
	v_fmamk_f32 v25, v22, 0x32a5705f, v25
	v_cvt_i32_f32_e32 v24, v24
	v_add_f32_e32 v23, v23, v25
	s_delay_alu instid0(VALU_DEP_1) | instskip(SKIP_1) | instid1(TRANS32_DEP_1)
	v_exp_f32_e32 v23, v23
	v_nop
	v_ldexp_f32 v23, v23, v24
	s_delay_alu instid0(VALU_DEP_1) | instskip(SKIP_1) | instid1(VALU_DEP_2)
	v_cndmask_b32_e32 v23, 0, v23, vcc_lo
	v_cmp_nlt_f32_e32 vcc_lo, 0x42b17218, v22
	v_cndmask_b32_e32 v54, 0x7f800000, v23, vcc_lo
	s_delay_alu instid0(VALU_DEP_1) | instskip(NEXT) | instid1(VALU_DEP_1)
	v_add_f32_e32 v24, 1.0, v54
	v_cvt_f64_f32_e32 v[22:23], v24
	s_delay_alu instid0(VALU_DEP_1) | instskip(SKIP_1) | instid1(VALU_DEP_1)
	v_frexp_exp_i32_f64_e32 v22, v[22:23]
	v_frexp_mant_f32_e32 v23, v24
	v_cmp_gt_f32_e32 vcc_lo, 0x3f2aaaab, v23
	s_delay_alu instid0(VALU_DEP_3) | instskip(NEXT) | instid1(VALU_DEP_1)
	v_subrev_co_ci_u32_e64 v38, null, 0, v22, vcc_lo
	v_dual_add_f32 v22, -1.0, v24 :: v_dual_sub_nc_u32 v23, 0, v38
	v_cmp_neq_f32_e32 vcc_lo, 0x7f800000, v54
	s_delay_alu instid0(VALU_DEP_2) | instskip(SKIP_1) | instid1(VALU_DEP_4)
	v_sub_f32_e32 v25, v22, v24
	v_sub_f32_e32 v22, v54, v22
	v_ldexp_f32 v24, v24, v23
	s_delay_alu instid0(VALU_DEP_1) | instskip(NEXT) | instid1(VALU_DEP_1)
	v_dual_add_f32 v25, 1.0, v25 :: v_dual_add_f32 v37, -1.0, v24
	v_dual_add_f32 v36, 1.0, v24 :: v_dual_add_f32 v22, v22, v25
	s_delay_alu instid0(VALU_DEP_1) | instskip(NEXT) | instid1(VALU_DEP_2)
	v_add_f32_e32 v25, -1.0, v36
	v_ldexp_f32 v22, v22, v23
	s_delay_alu instid0(VALU_DEP_2) | instskip(NEXT) | instid1(VALU_DEP_1)
	v_sub_f32_e32 v23, v24, v25
	v_dual_add_f32 v25, 1.0, v37 :: v_dual_add_f32 v39, v22, v23
	s_delay_alu instid0(VALU_DEP_1) | instskip(NEXT) | instid1(VALU_DEP_2)
	v_add_f32_e32 v40, v36, v39
	v_sub_f32_e32 v23, v24, v25
	s_delay_alu instid0(VALU_DEP_1) | instskip(NEXT) | instid1(VALU_DEP_1)
	v_add_f32_e32 v41, v22, v23
	v_add_f32_e32 v23, v37, v41
	s_delay_alu instid0(VALU_DEP_4) | instskip(SKIP_1) | instid1(TRANS32_DEP_1)
	v_rcp_f32_e32 v42, v40
	v_nop
	v_dual_sub_f32 v44, v37, v23 :: v_dual_mul_f32 v43, v23, v42
	v_sub_f32_e32 v22, v36, v40
	s_delay_alu instid0(VALU_DEP_1) | instskip(NEXT) | instid1(VALU_DEP_1)
	v_dual_mul_f32 v24, v40, v43 :: v_dual_add_f32 v39, v39, v22
	v_fma_f32 v36, v43, v40, -v24
	s_delay_alu instid0(VALU_DEP_1) | instskip(NEXT) | instid1(VALU_DEP_1)
	v_fmac_f32_e32 v36, v43, v39
	v_add_f32_e32 v22, v24, v36
	s_delay_alu instid0(VALU_DEP_1) | instskip(NEXT) | instid1(VALU_DEP_1)
	v_dual_sub_f32 v25, v23, v22 :: v_dual_mov_b32 v37, v22
	v_pk_add_f32 v[22:23], v[22:23], v[24:25] neg_lo:[0,1] neg_hi:[0,1]
	v_add_f32_e32 v24, v41, v44
	s_delay_alu instid0(VALU_DEP_2) | instskip(NEXT) | instid1(VALU_DEP_1)
	v_pk_add_f32 v[22:23], v[22:23], v[36:37] neg_lo:[0,1] neg_hi:[0,1]
	v_add_f32_e32 v23, v24, v23
	s_delay_alu instid0(VALU_DEP_1) | instskip(NEXT) | instid1(VALU_DEP_1)
	v_add_f32_e32 v41, v22, v23
	v_add_f32_e32 v23, v25, v41
	s_delay_alu instid0(VALU_DEP_1) | instskip(NEXT) | instid1(VALU_DEP_1)
	v_mul_f32_e32 v44, v42, v23
	v_mul_f32_e32 v36, v40, v44
	s_delay_alu instid0(VALU_DEP_1) | instskip(NEXT) | instid1(VALU_DEP_1)
	v_fma_f32 v24, v44, v40, -v36
	v_fmac_f32_e32 v24, v44, v39
	s_delay_alu instid0(VALU_DEP_1) | instskip(NEXT) | instid1(VALU_DEP_1)
	v_dual_sub_f32 v39, v25, v23 :: v_dual_add_f32 v22, v36, v24
	v_dual_sub_f32 v37, v23, v22 :: v_dual_mov_b32 v25, v22
	s_delay_alu instid0(VALU_DEP_1) | instskip(NEXT) | instid1(VALU_DEP_3)
	v_pk_add_f32 v[22:23], v[22:23], v[36:37] neg_lo:[0,1] neg_hi:[0,1]
	v_add_f32_e32 v36, v41, v39
	s_delay_alu instid0(VALU_DEP_2) | instskip(SKIP_1) | instid1(VALU_DEP_2)
	v_pk_add_f32 v[22:23], v[22:23], v[24:25] neg_lo:[0,1] neg_hi:[0,1]
	v_cvt_f32_i32_e32 v24, v38
	v_dual_add_f32 v23, v36, v23 :: v_dual_add_f32 v36, v43, v44
	s_delay_alu instid0(VALU_DEP_1) | instskip(NEXT) | instid1(VALU_DEP_1)
	v_add_f32_e32 v22, v22, v23
	v_dual_sub_f32 v23, v36, v43 :: v_dual_add_f32 v22, v37, v22
	s_delay_alu instid0(VALU_DEP_1) | instskip(NEXT) | instid1(VALU_DEP_1)
	v_dual_sub_f32 v23, v44, v23 :: v_dual_mul_f32 v22, v42, v22
	v_dual_add_f32 v39, v23, v22 :: v_dual_mov_b32 v22, 0x3f317218
	s_delay_alu instid0(VALU_DEP_1) | instskip(NEXT) | instid1(VALU_DEP_1)
	v_add_f32_e32 v37, v36, v39
	v_mul_f32_e32 v23, v37, v37
	s_delay_alu instid0(VALU_DEP_1) | instskip(NEXT) | instid1(VALU_DEP_1)
	v_dual_fmaak_f32 v40, s1, v23, 0x3ecc95a3 :: v_dual_mul_f32 v25, v37, v23
	v_fmaak_f32 v23, v23, v40, 0x3f2aaada
	s_delay_alu instid0(VALU_DEP_1) | instskip(NEXT) | instid1(VALU_DEP_1)
	v_pk_mul_f32 v[22:23], v[24:25], v[22:23]
	v_fma_f32 v38, 0x3f317218, v24, -v22
	s_delay_alu instid0(VALU_DEP_1) | instskip(SKIP_1) | instid1(VALU_DEP_1)
	v_fmamk_f32 v24, v24, 0xb102e308, v38
	v_sub_f32_e32 v38, v37, v36
	v_sub_f32_e32 v38, v39, v38
	v_ldexp_f32 v25, v37, 1
	s_delay_alu instid0(VALU_DEP_2) | instskip(NEXT) | instid1(VALU_DEP_2)
	v_ldexp_f32 v39, v38, 1
	v_pk_add_f32 v[36:37], v[22:23], v[24:25]
	s_delay_alu instid0(VALU_DEP_1) | instskip(NEXT) | instid1(VALU_DEP_1)
	v_dual_mov_b32 v38, v22 :: v_dual_sub_f32 v25, v37, v25
	v_sub_f32_e32 v25, v23, v25
	s_delay_alu instid0(VALU_DEP_3) | instskip(NEXT) | instid1(VALU_DEP_2)
	v_pk_add_f32 v[22:23], v[36:37], v[22:23] neg_lo:[0,1] neg_hi:[0,1]
	v_dual_add_f32 v39, v39, v25 :: v_dual_mov_b32 v25, v36
	s_delay_alu instid0(VALU_DEP_1) | instskip(NEXT) | instid1(VALU_DEP_1)
	v_pk_add_f32 v[40:41], v[36:37], v[38:39]
	v_dual_mov_b32 v52, v37 :: v_dual_mov_b32 v23, v41
	s_delay_alu instid0(VALU_DEP_1) | instskip(NEXT) | instid1(VALU_DEP_1)
	v_pk_add_f32 v[42:43], v[24:25], v[22:23]
	v_dual_mov_b32 v42, v41 :: v_dual_mov_b32 v38, v43
	v_pk_add_f32 v[22:23], v[24:25], v[22:23] neg_lo:[0,1] neg_hi:[0,1]
	s_delay_alu instid0(VALU_DEP_2) | instskip(SKIP_1) | instid1(VALU_DEP_2)
	v_pk_add_f32 v[44:45], v[38:39], v[36:37] neg_lo:[0,1] neg_hi:[0,1]
	v_dual_mov_b32 v37, v36 :: v_dual_mov_b32 v36, v39
	v_dual_mov_b32 v39, v44 :: v_dual_mov_b32 v53, v44
	s_delay_alu instid0(VALU_DEP_1) | instskip(NEXT) | instid1(VALU_DEP_2)
	v_pk_add_f32 v[24:25], v[40:41], v[38:39] neg_lo:[0,1] neg_hi:[0,1]
	v_pk_add_f32 v[44:45], v[42:43], v[52:53] neg_lo:[0,1] neg_hi:[0,1]
	v_mov_b32_e32 v24, v22
	s_delay_alu instid0(VALU_DEP_2) | instskip(NEXT) | instid1(VALU_DEP_1)
	v_pk_add_f32 v[36:37], v[36:37], v[44:45] neg_lo:[0,1] neg_hi:[0,1]
	v_pk_add_f32 v[24:25], v[24:25], v[36:37]
	s_delay_alu instid0(VALU_DEP_1) | instskip(NEXT) | instid1(VALU_DEP_1)
	v_mov_b32_e32 v40, v25
	v_pk_add_f32 v[40:41], v[24:25], v[40:41]
	s_delay_alu instid0(VALU_DEP_1) | instskip(NEXT) | instid1(VALU_DEP_1)
	v_pk_add_f32 v[38:39], v[38:39], v[40:41]
	v_dual_mov_b32 v23, v43 :: v_dual_mov_b32 v25, v38
	s_delay_alu instid0(VALU_DEP_1) | instskip(NEXT) | instid1(VALU_DEP_1)
	v_pk_add_f32 v[42:43], v[24:25], v[22:23] neg_lo:[0,1] neg_hi:[0,1]
	v_sub_f32_e32 v23, v24, v42
	s_delay_alu instid0(VALU_DEP_1) | instskip(NEXT) | instid1(VALU_DEP_1)
	v_dual_mov_b32 v37, v40 :: v_dual_sub_f32 v22, v22, v23
	v_pk_add_f32 v[24:25], v[36:37], v[42:43] neg_lo:[0,1] neg_hi:[0,1]
	s_delay_alu instid0(VALU_DEP_1) | instskip(NEXT) | instid1(VALU_DEP_1)
	v_add_f32_e32 v22, v24, v22
	v_add_f32_e32 v22, v22, v25
	s_delay_alu instid0(VALU_DEP_1) | instskip(NEXT) | instid1(VALU_DEP_1)
	v_add_f32_e32 v22, v38, v22
	v_cndmask_b32_e32 v22, 0x7f800000, v22, vcc_lo
	v_cmp_gt_f32_e32 vcc_lo, 0x33800000, v54
	s_delay_alu instid0(VALU_DEP_2)
	v_cndmask_b32_e32 v22, v22, v54, vcc_lo
.LBB6_20:
	s_or_b32 exec_lo, exec_lo, s0
	v_add_nc_u64_e32 v[18:19], s[14:15], v[18:19]
	s_delay_alu instid0(VALU_DEP_2)
	v_dual_mul_f32 v24, v22, v15 :: v_dual_mul_f32 v44, v22, v16
	v_dual_mul_f32 v45, v22, v17 :: v_dual_mul_f32 v60, v22, v10
	v_dual_mul_f32 v63, v22, v13 :: v_dual_mul_f32 v64, v22, v6
	global_load_b32 v18, v[18:19], off
	s_wait_xcnt 0x0
	v_dual_mul_f32 v19, v22, v14 :: v_dual_mov_b32 v23, 0
	v_dual_mul_f32 v61, v22, v11 :: v_dual_mul_f32 v62, v22, v12
	v_dual_mul_f32 v65, v22, v7 :: v_dual_mul_f32 v66, v22, v8
	s_delay_alu instid0(VALU_DEP_3)
	v_dual_mul_f32 v25, 0x3fb8aa3b, v19 :: v_dual_mul_f32 v74, 0x3fb8aa3b, v45
	v_dual_mul_f32 v67, v22, v9 :: v_dual_mul_f32 v68, v22, v2
	;; [unrolled: 1-line block ×5, first 2 shown]
	ds_load_b128 v[2:5], v23 offset:64
	ds_load_b128 v[6:9], v23 offset:80
	v_dual_mul_f32 v79, 0x3fb8aa3b, v64 :: v_dual_mul_f32 v82, 0x3fb8aa3b, v67
	ds_load_b128 v[10:13], v23 offset:96
	ds_load_b128 v[14:17], v23 offset:112
	ds_load_b128 v[36:39], v23
	ds_load_b128 v[40:43], v23 offset:16
	ds_load_b128 v[52:55], v23 offset:32
	;; [unrolled: 1-line block ×3, first 2 shown]
	v_fma_f32 v23, 0x3fb8aa3b, v19, -v25
	v_rndne_f32_e32 v87, v25
	v_dual_mul_f32 v75, 0x3fb8aa3b, v60 :: v_dual_mul_f32 v78, 0x3fb8aa3b, v63
	v_fma_f32 v88, 0x3fb8aa3b, v24, -v72
	v_rndne_f32_e32 v89, v72
	v_fma_f32 v90, 0x3fb8aa3b, v44, -v73
	v_fma_f32 v102, 0x3fb8aa3b, v64, -v79
	s_delay_alu instid0(VALU_DEP_4) | instskip(NEXT) | instid1(VALU_DEP_3)
	v_dual_fmac_f32 v23, 0x32a5705f, v19 :: v_dual_fmac_f32 v88, 0x32a5705f, v24
	v_dual_sub_f32 v25, v25, v87 :: v_dual_fmac_f32 v90, 0x32a5705f, v44
	v_dual_mul_f32 v85, 0x3fb8aa3b, v70 :: v_dual_sub_f32 v72, v72, v89
	v_fma_f32 v100, 0x3fb8aa3b, v63, -v78
	s_delay_alu instid0(VALU_DEP_3) | instskip(SKIP_2) | instid1(VALU_DEP_4)
	v_dual_fmac_f32 v102, 0x32a5705f, v64 :: v_dual_add_f32 v23, v25, v23
	v_dual_mul_f32 v77, 0x3fb8aa3b, v62 :: v_dual_mul_f32 v80, 0x3fb8aa3b, v65
	v_rndne_f32_e32 v91, v73
	v_dual_fmac_f32 v100, 0x32a5705f, v63 :: v_dual_add_f32 v25, v72, v88
	s_delay_alu instid0(VALU_DEP_4)
	v_exp_f32_e32 v23, v23
	v_dual_mul_f32 v81, 0x3fb8aa3b, v66 :: v_dual_mul_f32 v84, 0x3fb8aa3b, v69
	v_dual_mul_f32 v83, 0x3fb8aa3b, v68 :: v_dual_mul_f32 v86, 0x3fb8aa3b, v71
	v_cvt_i32_f32_e32 v87, v87
	v_fma_f32 v92, 0x3fb8aa3b, v45, -v74
	v_rndne_f32_e32 v105, v80
	v_sub_f32_e32 v73, v73, v91
	v_exp_f32_e32 v25, v25
	v_rndne_f32_e32 v93, v74
	v_fma_f32 v94, 0x3fb8aa3b, v60, -v75
	v_rndne_f32_e32 v95, v75
	v_fma_f32 v96, 0x3fb8aa3b, v61, -v76
	;; [unrolled: 2-line block ×3, first 2 shown]
	v_rndne_f32_e32 v99, v77
	v_rndne_f32_e32 v101, v78
	v_rndne_f32_e32 v103, v79
	v_fma_f32 v104, 0x3fb8aa3b, v65, -v80
	v_fma_f32 v106, 0x3fb8aa3b, v66, -v81
	v_rndne_f32_e32 v107, v81
	v_fma_f32 v108, 0x3fb8aa3b, v67, -v82
	v_rndne_f32_e32 v109, v82
	;; [unrolled: 2-line block ×3, first 2 shown]
	v_rndne_f32_e32 v115, v85
	v_cvt_i32_f32_e32 v89, v89
	v_ldexp_f32 v23, v23, v87
	v_cmp_ngt_f32_e32 vcc_lo, 0xc2ce8ed0, v19
	v_fmac_f32_e32 v92, 0x32a5705f, v45
	v_dual_sub_f32 v80, v80, v105 :: v_dual_add_f32 v72, v73, v90
	v_fma_f32 v112, 0x3fb8aa3b, v69, -v84
	v_rndne_f32_e32 v113, v84
	v_fma_f32 v114, 0x3fb8aa3b, v70, -v85
	v_fma_f32 v116, 0x3fb8aa3b, v71, -v86
	v_rndne_f32_e32 v117, v86
	v_dual_sub_f32 v74, v74, v93 :: v_dual_sub_f32 v75, v75, v95
	v_dual_fmac_f32 v94, 0x32a5705f, v60 :: v_dual_sub_f32 v77, v77, v99
	v_dual_fmac_f32 v96, 0x32a5705f, v61 :: v_dual_sub_f32 v79, v79, v103
	v_dual_sub_f32 v76, v76, v97 :: v_dual_sub_f32 v81, v81, v107
	v_dual_fmac_f32 v98, 0x32a5705f, v62 :: v_dual_sub_f32 v83, v83, v111
	v_dual_sub_f32 v78, v78, v101 :: v_dual_sub_f32 v85, v85, v115
	v_dual_fmac_f32 v104, 0x32a5705f, v65 :: v_dual_add_f32 v73, v74, v92
	v_fmac_f32_e32 v106, 0x32a5705f, v66
	v_fmac_f32_e32 v108, 0x32a5705f, v67
	v_dual_sub_f32 v82, v82, v109 :: v_dual_add_f32 v74, v75, v94
	v_dual_fmac_f32 v110, 0x32a5705f, v68 :: v_dual_cndmask_b32 v23, 0, v23
	v_ldexp_f32 v25, v25, v89
	v_cmp_ngt_f32_e32 vcc_lo, 0xc2ce8ed0, v24
	v_exp_f32_e32 v72, v72
	v_cvt_i32_f32_e32 v91, v91
	v_fmac_f32_e32 v112, 0x32a5705f, v69
	v_sub_f32_e32 v84, v84, v113
	v_dual_sub_f32 v86, v86, v117 :: v_dual_add_f32 v75, v76, v96
	v_dual_add_f32 v76, v77, v98 :: v_dual_add_f32 v77, v78, v100
	v_fmac_f32_e32 v114, 0x32a5705f, v70
	v_dual_add_f32 v78, v79, v102 :: v_dual_add_f32 v79, v80, v104
	v_fmac_f32_e32 v116, 0x32a5705f, v71
	v_dual_add_f32 v80, v81, v106 :: v_dual_add_f32 v81, v82, v108
	v_dual_add_f32 v82, v83, v110 :: v_dual_cndmask_b32 v25, 0, v25
	v_cmp_nlt_f32_e32 vcc_lo, 0x42b17218, v19
	v_ldexp_f32 v72, v72, v91
	v_exp_f32_e32 v73, v73
	v_cvt_i32_f32_e32 v93, v93
	v_add_f32_e32 v83, v84, v112
	v_exp_f32_e32 v74, v74
	v_cvt_i32_f32_e32 v95, v95
	v_exp_f32_e32 v75, v75
	v_cvt_i32_f32_e32 v97, v97
	v_ldexp_f32 v73, v73, v93
	v_exp_f32_e32 v76, v76
	v_cvt_i32_f32_e32 v99, v99
	v_ldexp_f32 v74, v74, v95
	v_exp_f32_e32 v77, v77
	v_ldexp_f32 v75, v75, v97
	v_cvt_i32_f32_e32 v101, v101
	v_exp_f32_e32 v78, v78
	v_ldexp_f32 v76, v76, v99
	v_cvt_i32_f32_e32 v103, v103
	v_exp_f32_e32 v79, v79
	v_ldexp_f32 v77, v77, v101
	v_cvt_i32_f32_e32 v105, v105
	v_cvt_i32_f32_e32 v107, v107
	v_ldexp_f32 v78, v78, v103
	v_exp_f32_e32 v81, v81
	v_cvt_i32_f32_e32 v109, v109
	v_ldexp_f32 v79, v79, v105
	v_exp_f32_e32 v82, v82
	v_cvt_i32_f32_e32 v111, v111
	v_exp_f32_e32 v83, v83
	v_cvt_i32_f32_e32 v113, v113
	v_ldexp_f32 v81, v81, v109
	v_cvt_i32_f32_e32 v115, v115
	v_cvt_i32_f32_e32 v117, v117
	v_ldexp_f32 v82, v82, v111
	s_add_nc_u64 s[0:1], s[18:19], s[4:5]
	v_ldexp_f32 v83, v83, v113
	s_mul_i32 s2, s21, s34
	s_mov_b32 s3, 0
	s_ashr_i64 s[4:5], s[12:13], 28
	s_add_nc_u64 s[0:1], s[0:1], s[2:3]
	v_add_nc_u64_e32 v[0:1], s[4:5], v[0:1]
	s_add_nc_u64 s[0:1], s[0:1], s[10:11]
	s_wait_loadcnt 0x0
	v_mul_f32_e32 v18, v22, v18
	v_cndmask_b32_e32 v22, 0x7f800000, v23, vcc_lo
	v_cmp_nlt_f32_e32 vcc_lo, 0x42b17218, v24
	v_dual_add_f32 v84, v85, v114 :: v_dual_add_f32 v85, v86, v116
	v_exp_f32_e32 v80, v80
	v_cndmask_b32_e32 v23, 0x7f800000, v25, vcc_lo
	v_cmp_ngt_f32_e32 vcc_lo, 0xc2ce8ed0, v44
	s_wait_dscnt 0x3
	v_pk_mul_f32 v[24:25], v[18:19], v[36:37] op_sel_hi:[0,1]
	v_exp_f32_e32 v84, v84
	v_exp_f32_e32 v85, v85
	v_ldexp_f32 v80, v80, v107
	v_cndmask_b32_e32 v19, 0, v72, vcc_lo
	v_cmp_ngt_f32_e32 vcc_lo, 0xc2ce8ed0, v45
	v_pk_fma_f32 v[22:23], v[50:51], v[22:23], v[24:25]
	s_delay_alu instid0(TRANS32_DEP_2) | instskip(NEXT) | instid1(TRANS32_DEP_1)
	v_ldexp_f32 v84, v84, v115
	v_ldexp_f32 v85, v85, v117
	v_cndmask_b32_e32 v36, 0, v73, vcc_lo
	v_cmp_nlt_f32_e32 vcc_lo, 0x42b17218, v44
	v_cndmask_b32_e32 v24, 0x7f800000, v19, vcc_lo
	v_cmp_nlt_f32_e32 vcc_lo, 0x42b17218, v45
	s_delay_alu instid0(VALU_DEP_4)
	v_cndmask_b32_e32 v25, 0x7f800000, v36, vcc_lo
	v_cmp_ngt_f32_e32 vcc_lo, 0xc2ce8ed0, v60
	v_pk_mul_f32 v[36:37], v[18:19], v[38:39] op_sel_hi:[0,1]
	v_fma_f32 v38, v2, v22, 0
	v_cndmask_b32_e32 v2, 0, v74, vcc_lo
	v_cmp_ngt_f32_e32 vcc_lo, 0xc2ce8ed0, v61
	s_delay_alu instid0(VALU_DEP_3) | instskip(SKIP_3) | instid1(VALU_DEP_3)
	v_fmac_f32_e32 v38, v3, v23
	v_pk_fma_f32 v[24:25], v[48:49], v[24:25], v[36:37]
	v_cndmask_b32_e32 v19, 0, v75, vcc_lo
	v_cmp_nlt_f32_e32 vcc_lo, 0x42b17218, v60
	v_fmac_f32_e32 v38, v4, v24
	s_wait_dscnt 0x2
	s_delay_alu instid0(VALU_DEP_3) | instskip(SKIP_4) | instid1(VALU_DEP_2)
	v_pk_mul_f32 v[36:37], v[18:19], v[40:41] op_sel_hi:[0,1]
	v_cndmask_b32_e32 v2, 0x7f800000, v2, vcc_lo
	v_cmp_nlt_f32_e32 vcc_lo, 0x42b17218, v61
	v_dual_fmac_f32 v38, v5, v25 :: v_dual_cndmask_b32 v3, 0x7f800000, v19
	v_cmp_ngt_f32_e32 vcc_lo, 0xc2ce8ed0, v62
	v_pk_fma_f32 v[2:3], v[46:47], v[2:3], v[36:37]
	v_cndmask_b32_e32 v4, 0, v76, vcc_lo
	v_cmp_ngt_f32_e32 vcc_lo, 0xc2ce8ed0, v63
	s_delay_alu instid0(VALU_DEP_3) | instskip(SKIP_1) | instid1(VALU_DEP_2)
	v_dual_fmac_f32 v38, v6, v2 :: v_dual_cndmask_b32 v19, 0, v77
	v_cmp_nlt_f32_e32 vcc_lo, 0x42b17218, v62
	v_fmac_f32_e32 v38, v7, v3
	s_delay_alu instid0(VALU_DEP_3) | instskip(SKIP_4) | instid1(VALU_DEP_2)
	v_pk_mul_f32 v[36:37], v[18:19], v[42:43] op_sel_hi:[0,1]
	v_cndmask_b32_e32 v4, 0x7f800000, v4, vcc_lo
	v_cmp_nlt_f32_e32 vcc_lo, 0x42b17218, v63
	v_cndmask_b32_e32 v5, 0x7f800000, v19, vcc_lo
	v_cmp_ngt_f32_e32 vcc_lo, 0xc2ce8ed0, v64
	v_pk_fma_f32 v[4:5], v[32:33], v[4:5], v[36:37]
	v_cndmask_b32_e32 v6, 0, v78, vcc_lo
	v_cmp_ngt_f32_e32 vcc_lo, 0xc2ce8ed0, v65
	s_delay_alu instid0(VALU_DEP_3) | instskip(SKIP_1) | instid1(VALU_DEP_2)
	v_dual_fmac_f32 v38, v8, v4 :: v_dual_cndmask_b32 v19, 0, v79
	v_cmp_nlt_f32_e32 vcc_lo, 0x42b17218, v64
	v_fmac_f32_e32 v38, v9, v5
	s_wait_dscnt 0x1
	s_delay_alu instid0(VALU_DEP_3) | instskip(SKIP_4) | instid1(VALU_DEP_2)
	v_pk_mul_f32 v[32:33], v[18:19], v[52:53] op_sel_hi:[0,1]
	v_cndmask_b32_e32 v6, 0x7f800000, v6, vcc_lo
	v_cmp_nlt_f32_e32 vcc_lo, 0x42b17218, v65
	v_cndmask_b32_e32 v7, 0x7f800000, v19, vcc_lo
	v_cmp_ngt_f32_e32 vcc_lo, 0xc2ce8ed0, v66
	v_pk_fma_f32 v[6:7], v[28:29], v[6:7], v[32:33]
	v_cndmask_b32_e32 v8, 0, v80, vcc_lo
	v_cmp_ngt_f32_e32 vcc_lo, 0xc2ce8ed0, v67
	s_delay_alu instid0(VALU_DEP_3) | instskip(SKIP_1) | instid1(VALU_DEP_2)
	v_dual_fmac_f32 v38, v10, v6 :: v_dual_cndmask_b32 v19, 0, v81
	v_cmp_nlt_f32_e32 vcc_lo, 0x42b17218, v66
	v_fmac_f32_e32 v38, v11, v7
	s_delay_alu instid0(VALU_DEP_3) | instskip(SKIP_4) | instid1(VALU_DEP_2)
	v_pk_mul_f32 v[28:29], v[18:19], v[54:55] op_sel_hi:[0,1]
	v_cndmask_b32_e32 v8, 0x7f800000, v8, vcc_lo
	v_cmp_nlt_f32_e32 vcc_lo, 0x42b17218, v67
	v_cndmask_b32_e32 v9, 0x7f800000, v19, vcc_lo
	v_cmp_ngt_f32_e32 vcc_lo, 0xc2ce8ed0, v68
	v_pk_fma_f32 v[8:9], v[30:31], v[8:9], v[28:29]
	v_cndmask_b32_e32 v10, 0, v82, vcc_lo
	v_cmp_ngt_f32_e32 vcc_lo, 0xc2ce8ed0, v69
	s_delay_alu instid0(VALU_DEP_3) | instskip(SKIP_1) | instid1(VALU_DEP_2)
	v_dual_fmac_f32 v38, v12, v8 :: v_dual_cndmask_b32 v19, 0, v83
	v_cmp_nlt_f32_e32 vcc_lo, 0x42b17218, v68
	v_fmac_f32_e32 v38, v13, v9
	s_wait_dscnt 0x0
	s_delay_alu instid0(VALU_DEP_3) | instskip(SKIP_4) | instid1(VALU_DEP_2)
	v_pk_mul_f32 v[28:29], v[18:19], v[56:57] op_sel_hi:[0,1]
	v_cndmask_b32_e32 v10, 0x7f800000, v10, vcc_lo
	v_cmp_nlt_f32_e32 vcc_lo, 0x42b17218, v69
	v_cndmask_b32_e32 v11, 0x7f800000, v19, vcc_lo
	v_cmp_ngt_f32_e32 vcc_lo, 0xc2ce8ed0, v70
	v_pk_fma_f32 v[10:11], v[26:27], v[10:11], v[28:29]
	v_cndmask_b32_e32 v12, 0, v84, vcc_lo
	v_cmp_ngt_f32_e32 vcc_lo, 0xc2ce8ed0, v71
	s_delay_alu instid0(VALU_DEP_3) | instskip(SKIP_1) | instid1(VALU_DEP_2)
	v_dual_fmac_f32 v38, v14, v10 :: v_dual_cndmask_b32 v19, 0, v85
	v_cmp_nlt_f32_e32 vcc_lo, 0x42b17218, v70
	v_fmac_f32_e32 v38, v15, v11
	v_lshl_add_u64 v[14:15], v[34:35], 2, s[0:1]
	v_cndmask_b32_e32 v12, 0x7f800000, v12, vcc_lo
	v_cmp_nlt_f32_e32 vcc_lo, 0x42b17218, v71
	v_cndmask_b32_e32 v13, 0x7f800000, v19, vcc_lo
	v_pk_mul_f32 v[18:19], v[18:19], v[58:59] op_sel_hi:[0,1]
	s_delay_alu instid0(VALU_DEP_1) | instskip(NEXT) | instid1(VALU_DEP_1)
	v_pk_fma_f32 v[12:13], v[20:21], v[12:13], v[18:19]
	v_fmac_f32_e32 v38, v16, v12
	s_delay_alu instid0(VALU_DEP_1)
	v_fmac_f32_e32 v38, v17, v13
	global_store_b32 v[0:1], v38, off
	s_wait_storecnt 0x0
	s_barrier_signal -1
	s_barrier_wait -1
	s_clause 0x3
	global_store_b128 v[14:15], v[22:25], off
	global_store_b128 v[14:15], v[2:5], off offset:16
	global_store_b128 v[14:15], v[6:9], off offset:32
	;; [unrolled: 1-line block ×3, first 2 shown]
	s_sendmsg sendmsg(MSG_DEALLOC_VGPRS)
	s_endpgm
	.section	.rodata,"a",@progbits
	.p2align	6, 0x0
	.amdhsa_kernel _Z12ssm_scan_f32ILm128ELm16ELm5EEvPKfS1_S1_S1_S1_S1_PKiPfiiiiiiiiiiilll
		.amdhsa_group_segment_fixed_size 128
		.amdhsa_private_segment_fixed_size 0
		.amdhsa_kernarg_size 136
		.amdhsa_user_sgpr_count 2
		.amdhsa_user_sgpr_dispatch_ptr 0
		.amdhsa_user_sgpr_queue_ptr 0
		.amdhsa_user_sgpr_kernarg_segment_ptr 1
		.amdhsa_user_sgpr_dispatch_id 0
		.amdhsa_user_sgpr_kernarg_preload_length 0
		.amdhsa_user_sgpr_kernarg_preload_offset 0
		.amdhsa_user_sgpr_private_segment_size 0
		.amdhsa_wavefront_size32 1
		.amdhsa_uses_dynamic_stack 0
		.amdhsa_enable_private_segment 0
		.amdhsa_system_sgpr_workgroup_id_x 1
		.amdhsa_system_sgpr_workgroup_id_y 1
		.amdhsa_system_sgpr_workgroup_id_z 0
		.amdhsa_system_sgpr_workgroup_info 0
		.amdhsa_system_vgpr_workitem_id 0
		.amdhsa_next_free_vgpr 144
		.amdhsa_next_free_sgpr 36
		.amdhsa_named_barrier_count 0
		.amdhsa_reserve_vcc 1
		.amdhsa_float_round_mode_32 0
		.amdhsa_float_round_mode_16_64 0
		.amdhsa_float_denorm_mode_32 3
		.amdhsa_float_denorm_mode_16_64 3
		.amdhsa_fp16_overflow 0
		.amdhsa_memory_ordered 1
		.amdhsa_forward_progress 1
		.amdhsa_inst_pref_size 128
		.amdhsa_round_robin_scheduling 0
		.amdhsa_exception_fp_ieee_invalid_op 0
		.amdhsa_exception_fp_denorm_src 0
		.amdhsa_exception_fp_ieee_div_zero 0
		.amdhsa_exception_fp_ieee_overflow 0
		.amdhsa_exception_fp_ieee_underflow 0
		.amdhsa_exception_fp_ieee_inexact 0
		.amdhsa_exception_int_div_zero 0
	.end_amdhsa_kernel
	.section	.text._Z12ssm_scan_f32ILm128ELm16ELm5EEvPKfS1_S1_S1_S1_S1_PKiPfiiiiiiiiiiilll,"axG",@progbits,_Z12ssm_scan_f32ILm128ELm16ELm5EEvPKfS1_S1_S1_S1_S1_PKiPfiiiiiiiiiiilll,comdat
.Lfunc_end6:
	.size	_Z12ssm_scan_f32ILm128ELm16ELm5EEvPKfS1_S1_S1_S1_S1_PKiPfiiiiiiiiiiilll, .Lfunc_end6-_Z12ssm_scan_f32ILm128ELm16ELm5EEvPKfS1_S1_S1_S1_S1_PKiPfiiiiiiiiiiilll
                                        ; -- End function
	.set _Z12ssm_scan_f32ILm128ELm16ELm5EEvPKfS1_S1_S1_S1_S1_PKiPfiiiiiiiiiiilll.num_vgpr, 144
	.set _Z12ssm_scan_f32ILm128ELm16ELm5EEvPKfS1_S1_S1_S1_S1_PKiPfiiiiiiiiiiilll.num_agpr, 0
	.set _Z12ssm_scan_f32ILm128ELm16ELm5EEvPKfS1_S1_S1_S1_S1_PKiPfiiiiiiiiiiilll.numbered_sgpr, 36
	.set _Z12ssm_scan_f32ILm128ELm16ELm5EEvPKfS1_S1_S1_S1_S1_PKiPfiiiiiiiiiiilll.num_named_barrier, 0
	.set _Z12ssm_scan_f32ILm128ELm16ELm5EEvPKfS1_S1_S1_S1_S1_PKiPfiiiiiiiiiiilll.private_seg_size, 0
	.set _Z12ssm_scan_f32ILm128ELm16ELm5EEvPKfS1_S1_S1_S1_S1_PKiPfiiiiiiiiiiilll.uses_vcc, 1
	.set _Z12ssm_scan_f32ILm128ELm16ELm5EEvPKfS1_S1_S1_S1_S1_PKiPfiiiiiiiiiiilll.uses_flat_scratch, 0
	.set _Z12ssm_scan_f32ILm128ELm16ELm5EEvPKfS1_S1_S1_S1_S1_PKiPfiiiiiiiiiiilll.has_dyn_sized_stack, 0
	.set _Z12ssm_scan_f32ILm128ELm16ELm5EEvPKfS1_S1_S1_S1_S1_PKiPfiiiiiiiiiiilll.has_recursion, 0
	.set _Z12ssm_scan_f32ILm128ELm16ELm5EEvPKfS1_S1_S1_S1_S1_PKiPfiiiiiiiiiiilll.has_indirect_call, 0
	.section	.AMDGPU.csdata,"",@progbits
; Kernel info:
; codeLenInByte = 16320
; TotalNumSgprs: 38
; NumVgprs: 144
; ScratchSize: 0
; MemoryBound: 0
; FloatMode: 240
; IeeeMode: 1
; LDSByteSize: 128 bytes/workgroup (compile time only)
; SGPRBlocks: 0
; VGPRBlocks: 8
; NumSGPRsForWavesPerEU: 38
; NumVGPRsForWavesPerEU: 144
; NamedBarCnt: 0
; Occupancy: 7
; WaveLimiterHint : 1
; COMPUTE_PGM_RSRC2:SCRATCH_EN: 0
; COMPUTE_PGM_RSRC2:USER_SGPR: 2
; COMPUTE_PGM_RSRC2:TRAP_HANDLER: 0
; COMPUTE_PGM_RSRC2:TGID_X_EN: 1
; COMPUTE_PGM_RSRC2:TGID_Y_EN: 1
; COMPUTE_PGM_RSRC2:TGID_Z_EN: 0
; COMPUTE_PGM_RSRC2:TIDIG_COMP_CNT: 0
	.section	.text._Z12ssm_scan_f32ILm128ELm16ELm6EEvPKfS1_S1_S1_S1_S1_PKiPfiiiiiiiiiiilll,"axG",@progbits,_Z12ssm_scan_f32ILm128ELm16ELm6EEvPKfS1_S1_S1_S1_S1_PKiPfiiiiiiiiiiilll,comdat
	.protected	_Z12ssm_scan_f32ILm128ELm16ELm6EEvPKfS1_S1_S1_S1_S1_PKiPfiiiiiiiiiiilll ; -- Begin function _Z12ssm_scan_f32ILm128ELm16ELm6EEvPKfS1_S1_S1_S1_S1_PKiPfiiiiiiiiiiilll
	.globl	_Z12ssm_scan_f32ILm128ELm16ELm6EEvPKfS1_S1_S1_S1_S1_PKiPfiiiiiiiiiiilll
	.p2align	8
	.type	_Z12ssm_scan_f32ILm128ELm16ELm6EEvPKfS1_S1_S1_S1_S1_PKiPfiiiiiiiiiiilll,@function
_Z12ssm_scan_f32ILm128ELm16ELm6EEvPKfS1_S1_S1_S1_S1_PKiPfiiiiiiiiiiilll: ; @_Z12ssm_scan_f32ILm128ELm16ELm6EEvPKfS1_S1_S1_S1_S1_PKiPfiiiiiiiiiiilll
; %bb.0:
	s_clause 0x1
	s_load_b512 s[4:19], s[0:1], 0x0
	s_load_b256 s[20:27], s[0:1], 0x40
	s_bfe_u32 s3, ttmp6, 0x4000c
	s_bfe_u32 s28, ttmp6, 0x40010
	s_add_co_i32 s3, s3, 1
	s_add_co_i32 s28, s28, 1
	s_and_b32 s2, ttmp6, 15
	s_bfe_u32 s29, ttmp6, 0x40004
	s_mul_i32 s3, ttmp9, s3
	s_mul_i32 s28, ttmp7, s28
	s_getreg_b32 s30, hwreg(HW_REG_IB_STS2, 6, 4)
	s_add_co_i32 s2, s2, s3
	s_add_co_i32 s29, s29, s28
	s_cmp_eq_u32 s30, 0
	s_mov_b32 s35, 0
	s_cselect_b32 s34, ttmp9, s2
	s_cselect_b32 s2, ttmp7, s29
	v_mov_b32_e32 v35, 0
	v_cmp_gt_u32_e32 vcc_lo, 16, v0
	s_wait_kmcnt 0x0
	s_load_b32 s30, s[16:17], s34 offset:0x0 scale_offset
	s_ashr_i32 s3, s26, 2
	s_ashr_i32 s29, s26, 31
	v_mul_lo_u32 v34, s3, v0
	s_mov_b32 s3, s35
	s_mov_b32 s28, s26
	s_wait_xcnt 0x0
	s_lshl_b64 s[16:17], s[2:3], 7
	s_ashr_i32 s26, s20, 2
	s_mul_u64 s[28:29], s[16:17], s[28:29]
	s_delay_alu instid0(SALU_CYCLE_1)
	s_add_nc_u64 s[10:11], s[10:11], s[28:29]
	s_delay_alu instid0(VALU_DEP_1) | instid1(SALU_CYCLE_1)
	v_lshl_add_u64 v[36:37], v[34:35], 2, s[10:11]
	v_mul_lo_u32 v34, s26, v0
	s_ashr_i32 s11, s20, 31
	s_mov_b32 s10, s20
	s_delay_alu instid0(SALU_CYCLE_1) | instskip(SKIP_4) | instid1(SALU_CYCLE_1)
	s_mul_u64 s[10:11], s[16:17], s[10:11]
	s_wait_kmcnt 0x0
	s_mul_i32 s28, s30, s21
	s_mov_b32 s17, s35
	s_ashr_i32 s29, s28, 31
	s_add_nc_u64 s[4:5], s[4:5], s[28:29]
	s_load_b96 s[28:30], s[0:1], 0x60
	s_add_nc_u64 s[4:5], s[4:5], s[10:11]
	s_delay_alu instid0(SALU_CYCLE_1)
	v_lshl_add_u64 v[38:39], v[34:35], 2, s[4:5]
	s_clause 0x3
	global_load_b128 v[2:5], v[36:37], off offset:48
	global_load_b128 v[6:9], v[36:37], off offset:32
	;; [unrolled: 1-line block ×3, first 2 shown]
	global_load_b128 v[14:17], v[36:37], off
	s_clause 0x3
	global_load_b128 v[18:21], v[38:39], off offset:48
	global_load_b128 v[22:25], v[38:39], off offset:32
	;; [unrolled: 1-line block ×3, first 2 shown]
	global_load_b128 v[30:33], v[38:39], off
	s_wait_xcnt 0x4
	v_dual_mov_b32 v37, v35 :: v_dual_lshlrev_b32 v36, 2, v0
	s_mov_b32 s5, s35
	s_delay_alu instid0(VALU_DEP_1)
	v_add_nc_u32_e32 v54, 64, v36
	s_wait_kmcnt 0x0
	s_mul_i32 s4, s28, s34
	s_mul_i32 s16, s30, s34
	s_add_nc_u64 s[4:5], s[12:13], s[4:5]
	s_add_nc_u64 s[12:13], s[14:15], s[16:17]
	v_add_nc_u64_e32 v[40:41], s[4:5], v[36:37]
	s_wait_xcnt 0x0
	v_add_nc_u64_e32 v[38:39], s[12:13], v[36:37]
	s_and_saveexec_b32 s4, vcc_lo
	s_cbranch_execz .LBB7_2
; %bb.1:
	global_load_b32 v1, v[40:41], off
	global_load_b32 v42, v[38:39], off
	s_wait_loadcnt 0x1
	ds_store_b32 v36, v1
	s_wait_loadcnt 0x0
	ds_store_b32 v54, v42
.LBB7_2:
	s_or_b32 exec_lo, exec_lo, s4
	s_mul_i32 s4, s25, s34
	s_mov_b32 s5, s35
	s_lshl_b64 s[12:13], s[2:3], 9
	s_add_nc_u64 s[2:3], s[8:9], s[4:5]
	s_wait_loadcnt_dscnt 0x0
	s_add_nc_u64 s[4:5], s[2:3], s[12:13]
	s_barrier_signal -1
	s_barrier_wait -1
	global_load_b32 v1, v0, s[4:5] scale_offset
	s_mov_b32 s3, exec_lo
	s_wait_loadcnt 0x0
	v_cmpx_ge_f32_e32 0x41a00000, v1
	s_cbranch_execz .LBB7_4
; %bb.3:
	v_mul_f32_e32 v42, 0x3fb8aa3b, v1
	v_cmp_ngt_f32_e64 s2, 0xc2ce8ed0, v1
	s_delay_alu instid0(VALU_DEP_2) | instskip(SKIP_1) | instid1(VALU_DEP_2)
	v_rndne_f32_e32 v43, v42
	v_fma_f32 v44, 0x3fb8aa3b, v1, -v42
	v_sub_f32_e32 v42, v42, v43
	s_delay_alu instid0(VALU_DEP_2) | instskip(SKIP_1) | instid1(VALU_DEP_2)
	v_fmamk_f32 v44, v1, 0x32a5705f, v44
	v_cvt_i32_f32_e32 v43, v43
	v_add_f32_e32 v42, v42, v44
	s_delay_alu instid0(VALU_DEP_1) | instskip(SKIP_1) | instid1(TRANS32_DEP_1)
	v_exp_f32_e32 v42, v42
	v_nop
	v_ldexp_f32 v42, v42, v43
	s_delay_alu instid0(VALU_DEP_1) | instskip(SKIP_1) | instid1(VALU_DEP_1)
	v_cndmask_b32_e64 v42, 0, v42, s2
	v_cmp_nlt_f32_e64 s2, 0x42b17218, v1
	v_cndmask_b32_e64 v55, 0x7f800000, v42, s2
	s_delay_alu instid0(VALU_DEP_1) | instskip(NEXT) | instid1(VALU_DEP_1)
	v_add_f32_e32 v1, 1.0, v55
	v_cvt_f64_f32_e32 v[42:43], v1
	s_delay_alu instid0(VALU_DEP_1) | instskip(SKIP_1) | instid1(VALU_DEP_1)
	v_frexp_exp_i32_f64_e32 v42, v[42:43]
	v_frexp_mant_f32_e32 v43, v1
	v_cmp_gt_f32_e64 s2, 0x3f2aaaab, v43
	s_delay_alu instid0(VALU_DEP_1) | instskip(SKIP_2) | instid1(VALU_DEP_1)
	v_subrev_co_ci_u32_e64 v48, null, 0, v42, s2
	v_add_f32_e32 v42, -1.0, v1
	s_mov_b32 s2, 0x3e9b6dac
	v_dual_sub_f32 v44, v42, v1 :: v_dual_sub_nc_u32 v43, 0, v48
	s_delay_alu instid0(VALU_DEP_1) | instskip(NEXT) | instid1(VALU_DEP_1)
	v_ldexp_f32 v1, v1, v43
	v_dual_add_f32 v45, 1.0, v1 :: v_dual_add_f32 v47, -1.0, v1
	s_delay_alu instid0(VALU_DEP_3) | instskip(NEXT) | instid1(VALU_DEP_1)
	v_dual_sub_f32 v42, v55, v42 :: v_dual_add_f32 v44, 1.0, v44
	v_dual_add_f32 v42, v42, v44 :: v_dual_add_f32 v44, -1.0, v45
	s_delay_alu instid0(VALU_DEP_1) | instskip(NEXT) | instid1(VALU_DEP_2)
	v_ldexp_f32 v42, v42, v43
	v_sub_f32_e32 v43, v1, v44
	s_delay_alu instid0(VALU_DEP_1) | instskip(NEXT) | instid1(VALU_DEP_1)
	v_add_f32_e32 v46, v42, v43
	v_dual_add_f32 v44, 1.0, v47 :: v_dual_add_f32 v49, v45, v46
	s_delay_alu instid0(VALU_DEP_1) | instskip(NEXT) | instid1(VALU_DEP_2)
	v_sub_f32_e32 v1, v1, v44
	v_rcp_f32_e32 v50, v49
	s_delay_alu instid0(VALU_DEP_1) | instskip(NEXT) | instid1(VALU_DEP_1)
	v_add_f32_e32 v1, v42, v1
	v_add_f32_e32 v43, v47, v1
	s_delay_alu instid0(TRANS32_DEP_1) | instid1(VALU_DEP_1)
	v_mul_f32_e32 v51, v43, v50
	s_delay_alu instid0(VALU_DEP_1) | instskip(SKIP_1) | instid1(VALU_DEP_1)
	v_mul_f32_e32 v44, v49, v51
	v_dual_sub_f32 v42, v45, v49 :: v_dual_sub_f32 v53, v47, v43
	v_dual_add_f32 v52, v46, v42 :: v_dual_fma_f32 v46, v51, v49, -v44
	s_delay_alu instid0(VALU_DEP_1) | instskip(NEXT) | instid1(VALU_DEP_1)
	v_dual_add_f32 v1, v1, v53 :: v_dual_fmac_f32 v46, v51, v52
	v_add_f32_e32 v42, v44, v46
	s_delay_alu instid0(VALU_DEP_1) | instskip(NEXT) | instid1(VALU_DEP_1)
	v_dual_sub_f32 v45, v43, v42 :: v_dual_mov_b32 v47, v42
	v_pk_add_f32 v[42:43], v[42:43], v[44:45] neg_lo:[0,1] neg_hi:[0,1]
	s_delay_alu instid0(VALU_DEP_1) | instskip(NEXT) | instid1(VALU_DEP_1)
	v_pk_add_f32 v[42:43], v[42:43], v[46:47] neg_lo:[0,1] neg_hi:[0,1]
	v_add_f32_e32 v1, v1, v43
	s_delay_alu instid0(VALU_DEP_1) | instskip(NEXT) | instid1(VALU_DEP_1)
	v_add_f32_e32 v1, v42, v1
	v_add_f32_e32 v43, v45, v1
	s_delay_alu instid0(VALU_DEP_1) | instskip(NEXT) | instid1(VALU_DEP_1)
	v_mul_f32_e32 v53, v50, v43
	v_mul_f32_e32 v46, v49, v53
	s_delay_alu instid0(VALU_DEP_1) | instskip(SKIP_1) | instid1(VALU_DEP_2)
	v_fma_f32 v44, v53, v49, -v46
	v_sub_f32_e32 v49, v45, v43
	v_fmac_f32_e32 v44, v53, v52
	s_delay_alu instid0(VALU_DEP_1) | instskip(NEXT) | instid1(VALU_DEP_1)
	v_add_f32_e32 v42, v46, v44
	v_dual_mov_b32 v45, v42 :: v_dual_sub_f32 v47, v43, v42
	s_delay_alu instid0(VALU_DEP_1) | instskip(SKIP_2) | instid1(VALU_DEP_3)
	v_pk_add_f32 v[42:43], v[42:43], v[46:47] neg_lo:[0,1] neg_hi:[0,1]
	v_add_f32_e32 v46, v51, v53
	v_add_f32_e32 v1, v1, v49
	v_pk_add_f32 v[42:43], v[42:43], v[44:45] neg_lo:[0,1] neg_hi:[0,1]
	v_cvt_f32_i32_e32 v44, v48
	s_delay_alu instid0(VALU_DEP_2) | instskip(NEXT) | instid1(VALU_DEP_1)
	v_add_f32_e32 v1, v1, v43
	v_add_f32_e32 v1, v42, v1
	v_sub_f32_e32 v42, v46, v51
	s_delay_alu instid0(VALU_DEP_1) | instskip(NEXT) | instid1(VALU_DEP_1)
	v_dual_sub_f32 v42, v53, v42 :: v_dual_add_f32 v1, v47, v1
	v_mul_f32_e32 v1, v50, v1
	s_delay_alu instid0(VALU_DEP_1) | instskip(NEXT) | instid1(VALU_DEP_1)
	v_dual_add_f32 v1, v42, v1 :: v_dual_mov_b32 v42, 0x3f317218
	v_add_f32_e32 v47, v46, v1
	s_delay_alu instid0(VALU_DEP_1) | instskip(NEXT) | instid1(VALU_DEP_1)
	v_mul_f32_e32 v43, v47, v47
	v_fmaak_f32 v49, s2, v43, 0x3ecc95a3
	v_mul_f32_e32 v45, v47, v43
	v_cmp_neq_f32_e64 s2, 0x7f800000, v55
	s_delay_alu instid0(VALU_DEP_3) | instskip(NEXT) | instid1(VALU_DEP_1)
	v_fmaak_f32 v43, v43, v49, 0x3f2aaada
	v_pk_mul_f32 v[42:43], v[44:45], v[42:43]
	s_delay_alu instid0(VALU_DEP_1) | instskip(NEXT) | instid1(VALU_DEP_1)
	v_fma_f32 v48, 0x3f317218, v44, -v42
	v_fmamk_f32 v44, v44, 0xb102e308, v48
	v_sub_f32_e32 v48, v47, v46
	s_delay_alu instid0(VALU_DEP_1) | instskip(SKIP_2) | instid1(VALU_DEP_3)
	v_sub_f32_e32 v1, v1, v48
	v_ldexp_f32 v45, v47, 1
	v_mov_b32_e32 v48, v42
	v_ldexp_f32 v1, v1, 1
	s_delay_alu instid0(VALU_DEP_3) | instskip(NEXT) | instid1(VALU_DEP_1)
	v_pk_add_f32 v[46:47], v[42:43], v[44:45]
	v_dual_sub_f32 v45, v47, v45 :: v_dual_mov_b32 v58, v47
	s_delay_alu instid0(VALU_DEP_1) | instskip(NEXT) | instid1(VALU_DEP_3)
	v_sub_f32_e32 v45, v43, v45
	v_pk_add_f32 v[42:43], v[46:47], v[42:43] neg_lo:[0,1] neg_hi:[0,1]
	s_delay_alu instid0(VALU_DEP_2) | instskip(NEXT) | instid1(VALU_DEP_1)
	v_dual_add_f32 v49, v1, v45 :: v_dual_mov_b32 v45, v46
	v_pk_add_f32 v[50:51], v[46:47], v[48:49]
	s_delay_alu instid0(VALU_DEP_1) | instskip(NEXT) | instid1(VALU_DEP_1)
	v_mov_b32_e32 v43, v51
	v_pk_add_f32 v[52:53], v[44:45], v[42:43]
	v_mov_b32_e32 v52, v51
	v_pk_add_f32 v[42:43], v[44:45], v[42:43] neg_lo:[0,1] neg_hi:[0,1]
	s_delay_alu instid0(VALU_DEP_3) | instskip(NEXT) | instid1(VALU_DEP_1)
	v_dual_mov_b32 v48, v53 :: v_dual_mov_b32 v43, v53
	v_pk_add_f32 v[56:57], v[48:49], v[46:47] neg_lo:[0,1] neg_hi:[0,1]
	v_dual_mov_b32 v47, v46 :: v_dual_mov_b32 v46, v49
	s_delay_alu instid0(VALU_DEP_2) | instskip(NEXT) | instid1(VALU_DEP_1)
	v_dual_mov_b32 v59, v56 :: v_dual_mov_b32 v1, v56
	v_pk_add_f32 v[56:57], v[52:53], v[58:59] neg_lo:[0,1] neg_hi:[0,1]
	s_delay_alu instid0(VALU_DEP_2) | instskip(SKIP_1) | instid1(VALU_DEP_3)
	v_pk_add_f32 v[44:45], v[50:51], v[0:1] neg_lo:[0,1] neg_hi:[0,1]
	v_mov_b32_e32 v44, v42
	v_pk_add_f32 v[46:47], v[46:47], v[56:57] neg_lo:[0,1] neg_hi:[0,1]
	s_delay_alu instid0(VALU_DEP_1) | instskip(NEXT) | instid1(VALU_DEP_1)
	v_pk_add_f32 v[44:45], v[44:45], v[46:47]
	v_mov_b32_e32 v50, v45
	s_delay_alu instid0(VALU_DEP_1) | instskip(NEXT) | instid1(VALU_DEP_1)
	v_pk_add_f32 v[50:51], v[44:45], v[50:51]
	v_pk_add_f32 v[48:49], v[48:49], v[50:51]
	s_delay_alu instid0(VALU_DEP_1) | instskip(NEXT) | instid1(VALU_DEP_1)
	v_dual_mov_b32 v47, v50 :: v_dual_mov_b32 v45, v48
	v_pk_add_f32 v[52:53], v[44:45], v[42:43] neg_lo:[0,1] neg_hi:[0,1]
	s_delay_alu instid0(VALU_DEP_1) | instskip(NEXT) | instid1(VALU_DEP_2)
	v_sub_f32_e32 v1, v44, v52
	v_pk_add_f32 v[44:45], v[46:47], v[52:53] neg_lo:[0,1] neg_hi:[0,1]
	s_delay_alu instid0(VALU_DEP_2) | instskip(NEXT) | instid1(VALU_DEP_1)
	v_sub_f32_e32 v1, v42, v1
	v_add_f32_e32 v1, v44, v1
	s_delay_alu instid0(VALU_DEP_1) | instskip(NEXT) | instid1(VALU_DEP_1)
	v_add_f32_e32 v1, v1, v45
	v_add_f32_e32 v1, v48, v1
	s_delay_alu instid0(VALU_DEP_1) | instskip(SKIP_1) | instid1(VALU_DEP_1)
	v_cndmask_b32_e64 v1, 0x7f800000, v1, s2
	v_cmp_gt_f32_e64 s2, 0x33800000, v55
	v_cndmask_b32_e64 v1, v1, v55, s2
.LBB7_4:
	s_or_b32 exec_lo, exec_lo, s3
	s_mul_i32 s2, s23, s34
	s_mov_b32 s3, 0
	v_add_nc_u64_e32 v[44:45], s[4:5], v[36:37]
	s_add_nc_u64 s[2:3], s[6:7], s[2:3]
	v_dual_mov_b32 v37, 0 :: v_dual_mul_f32 v43, v1, v14
	s_add_nc_u64 s[14:15], s[2:3], s[12:13]
	v_dual_mul_f32 v55, v1, v15 :: v_dual_mul_f32 v81, v1, v16
	global_load_b32 v42, v0, s[14:15] scale_offset
	v_dual_mul_f32 v83, v1, v17 :: v_dual_mul_f32 v84, v1, v10
	v_dual_mul_f32 v85, v1, v11 :: v_dual_mul_f32 v86, v1, v12
	;; [unrolled: 1-line block ×4, first 2 shown]
	s_delay_alu instid0(VALU_DEP_3) | instskip(SKIP_4) | instid1(VALU_DEP_4)
	v_dual_mul_f32 v82, 0x3fb8aa3b, v55 :: v_dual_mul_f32 v99, 0x3fb8aa3b, v85
	v_dual_mul_f32 v89, v1, v7 :: v_dual_mul_f32 v90, v1, v8
	v_dual_mul_f32 v91, v1, v9 :: v_dual_mul_f32 v92, v1, v2
	v_dual_mul_f32 v96, 0x3fb8aa3b, v81 :: v_dual_mul_f32 v97, 0x3fb8aa3b, v83
	v_dual_mul_f32 v98, 0x3fb8aa3b, v84 :: v_dual_mul_f32 v101, 0x3fb8aa3b, v87
	v_dual_mul_f32 v100, 0x3fb8aa3b, v86 :: v_dual_mul_f32 v103, 0x3fb8aa3b, v89
	v_rndne_f32_e32 v111, v80
	v_fma_f32 v112, 0x3fb8aa3b, v55, -v82
	v_rndne_f32_e32 v113, v82
	v_dual_mul_f32 v93, v1, v3 :: v_dual_mul_f32 v94, v1, v4
	v_dual_mul_f32 v102, 0x3fb8aa3b, v88 :: v_dual_mul_f32 v105, 0x3fb8aa3b, v91
	v_fma_f32 v110, 0x3fb8aa3b, v43, -v80
	v_fma_f32 v116, 0x3fb8aa3b, v83, -v97
	v_rndne_f32_e32 v117, v97
	v_rndne_f32_e32 v123, v100
	;; [unrolled: 1-line block ×3, first 2 shown]
	v_dual_sub_f32 v80, v80, v111 :: v_dual_sub_f32 v82, v82, v113
	v_fmac_f32_e32 v112, 0x32a5705f, v55
	v_dual_mul_f32 v106, 0x3fb8aa3b, v92 :: v_dual_mul_f32 v109, 0x3fb8aa3b, v95
	v_dual_mul_f32 v108, 0x3fb8aa3b, v94 :: v_dual_sub_f32 v97, v97, v117
	v_fma_f32 v114, 0x3fb8aa3b, v81, -v96
	v_rndne_f32_e32 v121, v99
	v_fma_f32 v122, 0x3fb8aa3b, v86, -v100
	v_fma_f32 v124, 0x3fb8aa3b, v87, -v101
	v_rndne_f32_e32 v127, v102
	v_rndne_f32_e32 v133, v105
	v_fmac_f32_e32 v110, 0x32a5705f, v43
	v_dual_fmac_f32 v116, 0x32a5705f, v83 :: v_dual_sub_f32 v101, v101, v125
	v_dual_sub_f32 v100, v100, v123 :: v_dual_add_f32 v82, v82, v112
	v_rndne_f32_e32 v119, v98
	v_fma_f32 v132, 0x3fb8aa3b, v91, -v105
	v_fma_f32 v140, 0x3fb8aa3b, v95, -v109
	v_rndne_f32_e32 v141, v109
	v_rndne_f32_e32 v115, v96
	v_fma_f32 v120, 0x3fb8aa3b, v85, -v99
	v_fma_f32 v126, 0x3fb8aa3b, v88, -v102
	v_dual_sub_f32 v99, v99, v121 :: v_dual_sub_f32 v102, v102, v127
	v_dual_add_f32 v80, v80, v110 :: v_dual_sub_f32 v105, v105, v133
	v_dual_fmac_f32 v114, 0x32a5705f, v81 :: v_dual_add_f32 v97, v97, v116
	v_exp_f32_e32 v82, v82
	v_fma_f32 v118, 0x3fb8aa3b, v84, -v98
	v_fma_f32 v128, 0x3fb8aa3b, v89, -v103
	v_rndne_f32_e32 v129, v103
	v_cvt_i32_f32_e32 v113, v113
	v_dual_sub_f32 v98, v98, v119 :: v_dual_sub_f32 v109, v109, v141
	v_fmac_f32_e32 v140, 0x32a5705f, v95
	v_fmac_f32_e32 v132, 0x32a5705f, v91
	v_dual_mul_f32 v104, 0x3fb8aa3b, v90 :: v_dual_mul_f32 v107, 0x3fb8aa3b, v93
	v_rndne_f32_e32 v135, v106
	v_dual_sub_f32 v96, v96, v115 :: v_dual_sub_f32 v103, v103, v129
	v_exp_f32_e32 v80, v80
	v_exp_f32_e32 v97, v97
	s_load_b128 s[4:7], s[0:1], 0x70
	v_cvt_i32_f32_e32 v111, v111
	v_cvt_i32_f32_e32 v117, v117
	v_dual_add_f32 v109, v109, v140 :: v_dual_fmac_f32 v128, 0x32a5705f, v89
	v_dual_add_f32 v105, v105, v132 :: v_dual_fmac_f32 v124, 0x32a5705f, v87
	v_ldexp_f32 v82, v82, v113
	s_wait_xcnt 0x0
	v_cmp_ngt_f32_e64 s0, 0xc2ce8ed0, v55
	v_rndne_f32_e32 v131, v104
	v_fma_f32 v134, 0x3fb8aa3b, v92, -v106
	v_rndne_f32_e32 v137, v107
	v_fmac_f32_e32 v118, 0x32a5705f, v84
	v_dual_sub_f32 v106, v106, v135 :: v_dual_add_f32 v96, v96, v114
	v_dual_add_f32 v103, v103, v128 :: v_dual_fmac_f32 v120, 0x32a5705f, v85
	v_dual_add_f32 v101, v101, v124 :: v_dual_fmac_f32 v122, 0x32a5705f, v86
	v_ldexp_f32 v80, v80, v111
	v_ldexp_f32 v97, v97, v117
	v_cndmask_b32_e64 v82, 0, v82, s0
	v_cmp_ngt_f32_e64 s0, 0xc2ce8ed0, v43
	v_fma_f32 v130, 0x3fb8aa3b, v90, -v104
	v_fma_f32 v136, 0x3fb8aa3b, v93, -v107
	v_dual_sub_f32 v107, v107, v137 :: v_dual_sub_f32 v104, v104, v131
	v_add_f32_e32 v98, v98, v118
	v_exp_f32_e32 v96, v96
	v_cvt_i32_f32_e32 v115, v115
	v_dual_add_f32 v99, v99, v120 :: v_dual_add_f32 v100, v100, v122
	v_cndmask_b32_e64 v110, 0, v80, s0
	v_cmp_ngt_f32_e64 s0, 0xc2ce8ed0, v83
	v_exp_f32_e32 v98, v98
	v_cvt_i32_f32_e32 v119, v119
	v_ldexp_f32 v96, v96, v115
	v_exp_f32_e32 v99, v99
	v_cndmask_b32_e64 v97, 0, v97, s0
	v_cmp_ngt_f32_e64 s0, 0xc2ce8ed0, v81
	v_cvt_i32_f32_e32 v121, v121
	v_ldexp_f32 v98, v98, v119
	v_exp_f32_e32 v100, v100
	v_cvt_i32_f32_e32 v123, v123
	v_cndmask_b32_e64 v96, 0, v96, s0
	v_cmp_ngt_f32_e64 s0, 0xc2ce8ed0, v84
	v_ldexp_f32 v99, v99, v121
	ds_load_b128 v[46:49], v37
	ds_load_b128 v[50:53], v37 offset:16
	ds_load_b128 v[56:59], v37 offset:32
	;; [unrolled: 1-line block ×7, first 2 shown]
	v_cndmask_b32_e64 v98, 0, v98, s0
	v_cmp_ngt_f32_e64 s0, 0xc2ce8ed0, v85
	v_rndne_f32_e32 v139, v108
	v_fmac_f32_e32 v126, 0x32a5705f, v88
	v_exp_f32_e32 v101, v101
	v_cvt_i32_f32_e32 v125, v125
	v_ldexp_f32 v100, v100, v123
	v_cndmask_b32_e64 v99, 0, v99, s0
	v_cmp_ngt_f32_e64 s0, 0xc2ce8ed0, v86
	v_fma_f32 v138, 0x3fb8aa3b, v94, -v108
	v_dual_sub_f32 v108, v108, v139 :: v_dual_add_f32 v102, v102, v126
	v_exp_f32_e32 v103, v103
	v_cvt_i32_f32_e32 v129, v129
	v_ldexp_f32 v101, v101, v125
	v_cndmask_b32_e64 v100, 0, v100, s0
	v_cmp_ngt_f32_e64 s0, 0xc2ce8ed0, v87
	v_exp_f32_e32 v102, v102
	v_cvt_i32_f32_e32 v127, v127
	v_ldexp_f32 v103, v103, v129
	v_exp_f32_e32 v105, v105
	v_cndmask_b32_e64 v101, 0, v101, s0
	v_cmp_ngt_f32_e64 s0, 0xc2ce8ed0, v89
	v_cvt_i32_f32_e32 v133, v133
	v_ldexp_f32 v102, v102, v127
	v_cvt_i32_f32_e32 v131, v131
	v_cvt_i32_f32_e32 v135, v135
	v_cndmask_b32_e64 v103, 0, v103, s0
	v_cmp_ngt_f32_e64 s0, 0xc2ce8ed0, v88
	v_ldexp_f32 v105, v105, v133
	v_cvt_i32_f32_e32 v137, v137
	v_exp_f32_e32 v109, v109
	v_cvt_i32_f32_e32 v141, v141
	v_cndmask_b32_e64 v102, 0, v102, s0
	v_cmp_nlt_f32_e64 s0, 0x42b17218, v43
	v_cvt_i32_f32_e32 v139, v139
	s_ashr_i32 s8, s27, 2
	s_ashr_i32 s2, s29, 2
	v_ldexp_f32 v109, v109, v141
	s_ashr_i32 s9, s8, 31
	s_ashr_i32 s3, s2, 31
	s_wait_loadcnt 0x0
	v_mul_f32_e32 v80, v1, v42
	v_cndmask_b32_e64 v42, 0x7f800000, v110, s0
	v_cmp_nlt_f32_e64 s0, 0x42b17218, v55
	s_wait_dscnt 0x7
	s_delay_alu instid0(VALU_DEP_3) | instskip(NEXT) | instid1(VALU_DEP_2)
	v_pk_mul_f32 v[46:47], v[80:81], v[46:47] op_sel_hi:[0,1]
	v_cndmask_b32_e64 v43, 0x7f800000, v82, s0
	v_cmp_ngt_f32_e64 s0, 0xc2ce8ed0, v91
	s_delay_alu instid0(VALU_DEP_2) | instskip(NEXT) | instid1(VALU_DEP_2)
	v_pk_fma_f32 v[42:43], v[30:31], v[42:43], v[46:47]
	v_cndmask_b32_e64 v1, 0, v105, s0
	v_cmp_nlt_f32_e64 s0, 0x42b17218, v81
	v_pk_mul_f32 v[46:47], v[80:81], v[48:49] op_sel_hi:[0,1]
	s_wait_dscnt 0x6
	v_pk_mul_f32 v[48:49], v[80:81], v[50:51] op_sel_hi:[0,1]
	s_wait_dscnt 0x3
	v_fma_f32 v55, v64, v42, 0
	v_cndmask_b32_e64 v82, 0x7f800000, v96, s0
	v_cmp_nlt_f32_e64 s0, 0x42b17218, v83
	s_delay_alu instid0(VALU_DEP_3) | instskip(NEXT) | instid1(VALU_DEP_2)
	v_fmac_f32_e32 v55, v65, v43
	v_cndmask_b32_e64 v83, 0x7f800000, v97, s0
	v_cmp_nlt_f32_e64 s0, 0x42b17218, v84
	s_delay_alu instid0(VALU_DEP_2) | instskip(NEXT) | instid1(VALU_DEP_2)
	v_pk_fma_f32 v[32:33], v[32:33], v[82:83], v[46:47]
	v_cndmask_b32_e64 v30, 0x7f800000, v98, s0
	v_cmp_nlt_f32_e64 s0, 0x42b17218, v85
	s_delay_alu instid0(VALU_DEP_3) | instskip(SKIP_1) | instid1(VALU_DEP_3)
	v_dual_fmac_f32 v136, 0x32a5705f, v93 :: v_dual_fmac_f32 v55, v66, v32
	v_fmac_f32_e32 v130, 0x32a5705f, v90
	v_cndmask_b32_e64 v31, 0x7f800000, v99, s0
	v_fmac_f32_e32 v134, 0x32a5705f, v92
	s_delay_alu instid0(VALU_DEP_4)
	v_add_f32_e32 v107, v107, v136
	v_fmac_f32_e32 v55, v67, v33
	v_cmp_ngt_f32_e64 s0, 0xc2ce8ed0, v90
	v_pk_fma_f32 v[30:31], v[26:27], v[30:31], v[48:49]
	v_pk_mul_f32 v[26:27], v[80:81], v[52:53] op_sel_hi:[0,1]
	v_exp_f32_e32 v107, v107
	s_wait_dscnt 0x2
	s_delay_alu instid0(VALU_DEP_2) | instskip(SKIP_1) | instid1(TRANS32_DEP_1)
	v_pk_mul_f32 v[48:49], v[68:69], v[30:31]
	v_add_f32_e32 v104, v104, v130
	v_ldexp_f32 v107, v107, v137
	s_delay_alu instid0(VALU_DEP_3) | instskip(NEXT) | instid1(VALU_DEP_3)
	v_add_f32_e32 v48, v55, v48
	v_exp_f32_e32 v104, v104
	s_delay_alu instid0(VALU_DEP_1) | instskip(NEXT) | instid1(TRANS32_DEP_1)
	v_dual_fmac_f32 v138, 0x32a5705f, v94 :: v_dual_add_f32 v49, v48, v49
	v_ldexp_f32 v104, v104, v131
	s_delay_alu instid0(VALU_DEP_1) | instskip(SKIP_1) | instid1(VALU_DEP_2)
	v_dual_add_f32 v106, v106, v134 :: v_dual_cndmask_b32 v64, 0, v104, s0
	v_cmp_nlt_f32_e64 s0, 0x42b17218, v86
	v_exp_f32_e32 v106, v106
	s_delay_alu instid0(VALU_DEP_1) | instskip(SKIP_1) | instid1(TRANS32_DEP_1)
	v_cndmask_b32_e64 v46, 0x7f800000, v100, s0
	v_cmp_nlt_f32_e64 s0, 0x42b17218, v87
	v_ldexp_f32 v106, v106, v135
	s_delay_alu instid0(VALU_DEP_2) | instskip(SKIP_1) | instid1(VALU_DEP_2)
	v_cndmask_b32_e64 v47, 0x7f800000, v101, s0
	v_cmp_ngt_f32_e64 s0, 0xc2ce8ed0, v92
	v_pk_fma_f32 v[26:27], v[28:29], v[46:47], v[26:27]
	s_delay_alu instid0(VALU_DEP_2) | instskip(SKIP_1) | instid1(VALU_DEP_3)
	v_cndmask_b32_e64 v52, 0, v106, s0
	v_cmp_nlt_f32_e64 s0, 0x42b17218, v88
	v_pk_mul_f32 v[46:47], v[70:71], v[26:27]
	s_delay_alu instid0(VALU_DEP_2) | instskip(SKIP_1) | instid1(VALU_DEP_3)
	v_cndmask_b32_e64 v50, 0x7f800000, v102, s0
	v_cmp_nlt_f32_e64 s0, 0x42b17218, v89
	v_add_f32_e32 v46, v49, v46
	s_delay_alu instid0(VALU_DEP_2) | instskip(SKIP_1) | instid1(VALU_DEP_1)
	v_cndmask_b32_e64 v51, 0x7f800000, v103, s0
	v_cmp_ngt_f32_e64 s0, 0xc2ce8ed0, v93
	v_dual_add_f32 v108, v108, v138 :: v_dual_cndmask_b32 v53, 0, v107, s0
	v_cmp_nlt_f32_e64 s0, 0x42b17218, v90
	s_delay_alu instid0(VALU_DEP_2) | instskip(NEXT) | instid1(VALU_DEP_1)
	v_exp_f32_e32 v108, v108
	v_cndmask_b32_e64 v48, 0x7f800000, v64, s0
	v_cmp_nlt_f32_e64 s0, 0x42b17218, v91
	s_delay_alu instid0(TRANS32_DEP_1) | instskip(NEXT) | instid1(VALU_DEP_2)
	v_ldexp_f32 v108, v108, v139
	v_cndmask_b32_e64 v49, 0x7f800000, v1, s0
	v_add_f32_e32 v1, v46, v47
	v_pk_mul_f32 v[28:29], v[80:81], v[56:57] op_sel_hi:[0,1]
	v_cmp_ngt_f32_e64 s0, 0xc2ce8ed0, v94
	s_delay_alu instid0(VALU_DEP_2) | instskip(NEXT) | instid1(VALU_DEP_2)
	v_pk_fma_f32 v[22:23], v[22:23], v[50:51], v[28:29]
	v_cndmask_b32_e64 v55, 0, v108, s0
	v_cmp_nlt_f32_e64 s0, 0x42b17218, v92
	v_pk_mul_f32 v[28:29], v[80:81], v[58:59] op_sel_hi:[0,1]
	s_wait_dscnt 0x1
	v_pk_mul_f32 v[50:51], v[72:73], v[22:23]
	s_delay_alu instid0(VALU_DEP_3) | instskip(SKIP_2) | instid1(VALU_DEP_4)
	v_cndmask_b32_e64 v46, 0x7f800000, v52, s0
	v_cmp_nlt_f32_e64 s0, 0x42b17218, v93
	v_pk_fma_f32 v[24:25], v[24:25], v[48:49], v[28:29]
	v_add_f32_e32 v1, v1, v50
	v_pk_mul_f32 v[28:29], v[80:81], v[60:61] op_sel_hi:[0,1]
	s_delay_alu instid0(VALU_DEP_4) | instskip(SKIP_3) | instid1(VALU_DEP_4)
	v_cndmask_b32_e64 v47, 0x7f800000, v53, s0
	v_cmp_ngt_f32_e64 s0, 0xc2ce8ed0, v95
	v_pk_mul_f32 v[48:49], v[74:75], v[24:25]
	v_add_f32_e32 v1, v1, v51
	v_pk_fma_f32 v[18:19], v[18:19], v[46:47], v[28:29]
	s_delay_alu instid0(VALU_DEP_4) | instskip(SKIP_1) | instid1(VALU_DEP_4)
	v_cndmask_b32_e64 v51, 0, v109, s0
	v_cmp_nlt_f32_e64 s0, 0x42b17218, v94
	v_add_f32_e32 v1, v1, v48
	v_pk_mul_f32 v[28:29], v[80:81], v[62:63] op_sel_hi:[0,1]
	s_wait_dscnt 0x0
	v_pk_mul_f32 v[46:47], v[76:77], v[18:19]
	v_cndmask_b32_e64 v50, 0x7f800000, v55, s0
	v_cmp_nlt_f32_e64 s0, 0x42b17218, v95
	v_add_f32_e32 v1, v1, v49
	s_delay_alu instid0(VALU_DEP_2) | instskip(NEXT) | instid1(VALU_DEP_2)
	v_cndmask_b32_e64 v51, 0x7f800000, v51, s0
	v_add_f32_e32 v1, v1, v46
	s_wait_kmcnt 0x0
	s_mul_u64 s[0:1], s[34:35], s[6:7]
	s_delay_alu instid0(SALU_CYCLE_1) | instskip(SKIP_3) | instid1(SALU_CYCLE_1)
	s_mul_u64 s[0:1], s[0:1], 24
	v_pk_fma_f32 v[20:21], v[20:21], v[50:51], v[28:29]
	v_add_f32_e32 v1, v1, v47
	s_add_nc_u64 s[0:1], s[18:19], s[0:1]
	s_add_nc_u64 s[0:1], s[0:1], s[12:13]
	s_delay_alu instid0(VALU_DEP_2) | instskip(NEXT) | instid1(VALU_DEP_1)
	v_pk_mul_f32 v[28:29], v[78:79], v[20:21]
	v_add_f32_e32 v1, v1, v28
	s_delay_alu instid0(VALU_DEP_1)
	v_add_f32_e32 v1, v1, v29
	global_store_b32 v0, v1, s[0:1] scale_offset
	s_wait_storecnt 0x0
	s_barrier_signal -1
	s_barrier_wait -1
	s_wait_xcnt 0x0
	s_and_saveexec_b32 s12, vcc_lo
	s_cbranch_execz .LBB7_6
; %bb.5:
	v_lshl_add_u64 v[0:1], s[8:9], 2, v[40:41]
	v_lshl_add_u64 v[28:29], s[2:3], 2, v[38:39]
	global_load_b32 v46, v[0:1], off
	global_load_b32 v47, v[28:29], off
	s_wait_loadcnt 0x1
	ds_store_b32 v36, v46
	s_wait_loadcnt 0x0
	ds_store_b32 v54, v47
.LBB7_6:
	s_or_b32 exec_lo, exec_lo, s12
	s_ashr_i32 s12, s24, 2
	s_wait_dscnt 0x0
	s_ashr_i32 s13, s12, 31
	s_barrier_signal -1
	v_lshl_add_u64 v[28:29], s[12:13], 2, v[44:45]
	s_barrier_wait -1
	v_add_nc_u64_e32 v[44:45], s[14:15], v[36:37]
	v_add_nc_u64_e32 v[0:1], s[0:1], v[36:37]
	global_load_b32 v46, v[28:29], off
	s_mov_b32 s1, exec_lo
	s_wait_loadcnt 0x0
	v_cmpx_ge_f32_e32 0x41a00000, v46
	s_cbranch_execz .LBB7_8
; %bb.7:
	v_mul_f32_e32 v37, 0x3fb8aa3b, v46
	v_cmp_ngt_f32_e64 s0, 0xc2ce8ed0, v46
	s_delay_alu instid0(VALU_DEP_2) | instskip(SKIP_1) | instid1(VALU_DEP_1)
	v_rndne_f32_e32 v47, v37
	v_fma_f32 v48, 0x3fb8aa3b, v46, -v37
	v_dual_sub_f32 v37, v37, v47 :: v_dual_fmamk_f32 v48, v46, 0x32a5705f, v48
	v_cvt_i32_f32_e32 v47, v47
	s_delay_alu instid0(VALU_DEP_2) | instskip(NEXT) | instid1(VALU_DEP_1)
	v_add_f32_e32 v37, v37, v48
	v_exp_f32_e32 v37, v37
	v_nop
	s_delay_alu instid0(TRANS32_DEP_1) | instskip(NEXT) | instid1(VALU_DEP_1)
	v_ldexp_f32 v37, v37, v47
	v_cndmask_b32_e64 v37, 0, v37, s0
	v_cmp_nlt_f32_e64 s0, 0x42b17218, v46
	s_delay_alu instid0(VALU_DEP_1) | instskip(NEXT) | instid1(VALU_DEP_1)
	v_cndmask_b32_e64 v55, 0x7f800000, v37, s0
	v_add_f32_e32 v37, 1.0, v55
	s_delay_alu instid0(VALU_DEP_1) | instskip(NEXT) | instid1(VALU_DEP_1)
	v_cvt_f64_f32_e32 v[46:47], v37
	v_frexp_exp_i32_f64_e32 v46, v[46:47]
	v_frexp_mant_f32_e32 v47, v37
	s_delay_alu instid0(VALU_DEP_1) | instskip(NEXT) | instid1(VALU_DEP_1)
	v_cmp_gt_f32_e64 s0, 0x3f2aaaab, v47
	v_subrev_co_ci_u32_e64 v52, null, 0, v46, s0
	v_add_f32_e32 v46, -1.0, v37
	s_mov_b32 s0, 0x3e9b6dac
	s_delay_alu instid0(VALU_DEP_1) | instskip(NEXT) | instid1(VALU_DEP_1)
	v_dual_sub_f32 v48, v46, v37 :: v_dual_sub_nc_u32 v47, 0, v52
	v_dual_sub_f32 v46, v55, v46 :: v_dual_add_f32 v48, 1.0, v48
	s_delay_alu instid0(VALU_DEP_1) | instskip(NEXT) | instid1(VALU_DEP_3)
	v_add_f32_e32 v46, v46, v48
	v_ldexp_f32 v37, v37, v47
	s_delay_alu instid0(VALU_DEP_2) | instskip(NEXT) | instid1(VALU_DEP_2)
	v_ldexp_f32 v46, v46, v47
	v_dual_add_f32 v49, 1.0, v37 :: v_dual_add_f32 v51, -1.0, v37
	s_delay_alu instid0(VALU_DEP_1) | instskip(NEXT) | instid1(VALU_DEP_1)
	v_add_f32_e32 v48, -1.0, v49
	v_dual_sub_f32 v47, v37, v48 :: v_dual_add_f32 v48, 1.0, v51
	s_delay_alu instid0(VALU_DEP_1) | instskip(NEXT) | instid1(VALU_DEP_1)
	v_dual_add_f32 v50, v46, v47 :: v_dual_sub_f32 v37, v37, v48
	v_dual_add_f32 v53, v49, v50 :: v_dual_add_f32 v37, v46, v37
	s_delay_alu instid0(VALU_DEP_1) | instskip(SKIP_1) | instid1(VALU_DEP_1)
	v_sub_f32_e32 v46, v49, v53
	v_rcp_f32_e32 v56, v53
	v_dual_add_f32 v58, v50, v46 :: v_dual_add_f32 v47, v51, v37
	s_delay_alu instid0(TRANS32_DEP_1) | instid1(VALU_DEP_1)
	v_mul_f32_e32 v57, v47, v56
	s_delay_alu instid0(VALU_DEP_1) | instskip(NEXT) | instid1(VALU_DEP_1)
	v_mul_f32_e32 v48, v53, v57
	v_fma_f32 v50, v57, v53, -v48
	s_delay_alu instid0(VALU_DEP_1) | instskip(NEXT) | instid1(VALU_DEP_1)
	v_dual_fmac_f32 v50, v57, v58 :: v_dual_sub_f32 v59, v51, v47
	v_dual_add_f32 v46, v48, v50 :: v_dual_add_f32 v37, v37, v59
	s_delay_alu instid0(VALU_DEP_1) | instskip(NEXT) | instid1(VALU_DEP_1)
	v_dual_sub_f32 v49, v47, v46 :: v_dual_mov_b32 v51, v46
	v_pk_add_f32 v[46:47], v[46:47], v[48:49] neg_lo:[0,1] neg_hi:[0,1]
	s_delay_alu instid0(VALU_DEP_1) | instskip(NEXT) | instid1(VALU_DEP_1)
	v_pk_add_f32 v[46:47], v[46:47], v[50:51] neg_lo:[0,1] neg_hi:[0,1]
	v_add_f32_e32 v37, v37, v47
	s_delay_alu instid0(VALU_DEP_1) | instskip(NEXT) | instid1(VALU_DEP_1)
	v_add_f32_e32 v37, v46, v37
	v_add_f32_e32 v47, v49, v37
	s_delay_alu instid0(VALU_DEP_1) | instskip(NEXT) | instid1(VALU_DEP_1)
	v_mul_f32_e32 v59, v56, v47
	v_mul_f32_e32 v50, v53, v59
	s_delay_alu instid0(VALU_DEP_1) | instskip(NEXT) | instid1(VALU_DEP_1)
	v_fma_f32 v48, v59, v53, -v50
	v_dual_fmac_f32 v48, v59, v58 :: v_dual_sub_f32 v53, v49, v47
	s_delay_alu instid0(VALU_DEP_1) | instskip(NEXT) | instid1(VALU_DEP_1)
	v_dual_add_f32 v46, v50, v48 :: v_dual_add_f32 v37, v37, v53
	v_dual_sub_f32 v51, v47, v46 :: v_dual_mov_b32 v49, v46
	s_delay_alu instid0(VALU_DEP_1) | instskip(NEXT) | instid1(VALU_DEP_1)
	v_pk_add_f32 v[46:47], v[46:47], v[50:51] neg_lo:[0,1] neg_hi:[0,1]
	v_pk_add_f32 v[46:47], v[46:47], v[48:49] neg_lo:[0,1] neg_hi:[0,1]
	v_add_f32_e32 v50, v57, v59
	v_cvt_f32_i32_e32 v48, v52
	s_delay_alu instid0(VALU_DEP_3) | instskip(NEXT) | instid1(VALU_DEP_1)
	v_add_f32_e32 v37, v37, v47
	v_add_f32_e32 v37, v46, v37
	s_delay_alu instid0(VALU_DEP_4) | instskip(NEXT) | instid1(VALU_DEP_2)
	v_sub_f32_e32 v46, v50, v57
	v_add_f32_e32 v37, v51, v37
	s_delay_alu instid0(VALU_DEP_1) | instskip(NEXT) | instid1(VALU_DEP_1)
	v_dual_sub_f32 v46, v59, v46 :: v_dual_mul_f32 v37, v56, v37
	v_dual_add_f32 v37, v46, v37 :: v_dual_mov_b32 v46, 0x3f317218
	s_delay_alu instid0(VALU_DEP_1) | instskip(NEXT) | instid1(VALU_DEP_1)
	v_add_f32_e32 v51, v50, v37
	v_mul_f32_e32 v47, v51, v51
	s_delay_alu instid0(VALU_DEP_1) | instskip(SKIP_2) | instid1(VALU_DEP_3)
	v_fmaak_f32 v53, s0, v47, 0x3ecc95a3
	v_mul_f32_e32 v49, v51, v47
	v_cmp_neq_f32_e64 s0, 0x7f800000, v55
	v_fmaak_f32 v47, v47, v53, 0x3f2aaada
	s_delay_alu instid0(VALU_DEP_1) | instskip(NEXT) | instid1(VALU_DEP_1)
	v_pk_mul_f32 v[46:47], v[48:49], v[46:47]
	v_fma_f32 v52, 0x3f317218, v48, -v46
	s_delay_alu instid0(VALU_DEP_1) | instskip(SKIP_2) | instid1(VALU_DEP_2)
	v_fmamk_f32 v48, v48, 0xb102e308, v52
	v_ldexp_f32 v49, v51, 1
	v_sub_f32_e32 v52, v51, v50
	v_pk_add_f32 v[50:51], v[46:47], v[48:49]
	s_delay_alu instid0(VALU_DEP_2) | instskip(NEXT) | instid1(VALU_DEP_2)
	v_dual_sub_f32 v37, v37, v52 :: v_dual_mov_b32 v52, v46
	v_sub_f32_e32 v49, v51, v49
	s_delay_alu instid0(VALU_DEP_2) | instskip(SKIP_1) | instid1(VALU_DEP_3)
	v_ldexp_f32 v37, v37, 1
	v_mov_b32_e32 v62, v51
	v_sub_f32_e32 v49, v47, v49
	v_pk_add_f32 v[46:47], v[50:51], v[46:47] neg_lo:[0,1] neg_hi:[0,1]
	s_delay_alu instid0(VALU_DEP_2) | instskip(NEXT) | instid1(VALU_DEP_1)
	v_dual_add_f32 v53, v37, v49 :: v_dual_mov_b32 v49, v50
	v_pk_add_f32 v[56:57], v[50:51], v[52:53]
	s_delay_alu instid0(VALU_DEP_1) | instskip(NEXT) | instid1(VALU_DEP_1)
	v_mov_b32_e32 v47, v57
	v_pk_add_f32 v[58:59], v[48:49], v[46:47]
	v_pk_add_f32 v[46:47], v[48:49], v[46:47] neg_lo:[0,1] neg_hi:[0,1]
	s_delay_alu instid0(VALU_DEP_2) | instskip(NEXT) | instid1(VALU_DEP_1)
	v_dual_mov_b32 v52, v59 :: v_dual_mov_b32 v47, v59
	v_pk_add_f32 v[60:61], v[52:53], v[50:51] neg_lo:[0,1] neg_hi:[0,1]
	v_dual_mov_b32 v58, v57 :: v_dual_mov_b32 v51, v50
	s_delay_alu instid0(VALU_DEP_2) | instskip(SKIP_1) | instid1(VALU_DEP_2)
	v_dual_mov_b32 v50, v53 :: v_dual_mov_b32 v63, v60
	v_mov_b32_e32 v37, v60
	v_pk_add_f32 v[60:61], v[58:59], v[62:63] neg_lo:[0,1] neg_hi:[0,1]
	s_delay_alu instid0(VALU_DEP_2) | instskip(SKIP_1) | instid1(VALU_DEP_3)
	v_pk_add_f32 v[48:49], v[56:57], v[36:37] neg_lo:[0,1] neg_hi:[0,1]
	v_mov_b32_e32 v48, v46
	v_pk_add_f32 v[50:51], v[50:51], v[60:61] neg_lo:[0,1] neg_hi:[0,1]
	s_delay_alu instid0(VALU_DEP_1) | instskip(NEXT) | instid1(VALU_DEP_1)
	v_pk_add_f32 v[48:49], v[48:49], v[50:51]
	v_mov_b32_e32 v56, v49
	s_delay_alu instid0(VALU_DEP_1) | instskip(NEXT) | instid1(VALU_DEP_1)
	v_pk_add_f32 v[56:57], v[48:49], v[56:57]
	v_pk_add_f32 v[52:53], v[52:53], v[56:57]
	s_delay_alu instid0(VALU_DEP_1) | instskip(NEXT) | instid1(VALU_DEP_1)
	v_dual_mov_b32 v51, v56 :: v_dual_mov_b32 v49, v52
	v_pk_add_f32 v[58:59], v[48:49], v[46:47] neg_lo:[0,1] neg_hi:[0,1]
	s_delay_alu instid0(VALU_DEP_1) | instskip(NEXT) | instid1(VALU_DEP_2)
	v_sub_f32_e32 v37, v48, v58
	v_pk_add_f32 v[48:49], v[50:51], v[58:59] neg_lo:[0,1] neg_hi:[0,1]
	s_delay_alu instid0(VALU_DEP_2) | instskip(NEXT) | instid1(VALU_DEP_1)
	v_sub_f32_e32 v37, v46, v37
	v_add_f32_e32 v37, v48, v37
	s_delay_alu instid0(VALU_DEP_1) | instskip(NEXT) | instid1(VALU_DEP_1)
	v_add_f32_e32 v37, v37, v49
	v_add_f32_e32 v37, v52, v37
	s_delay_alu instid0(VALU_DEP_1) | instskip(SKIP_1) | instid1(VALU_DEP_1)
	v_cndmask_b32_e64 v37, 0x7f800000, v37, s0
	v_cmp_gt_f32_e64 s0, 0x33800000, v55
	v_cndmask_b32_e64 v46, v37, v55, s0
.LBB7_8:
	s_or_b32 exec_lo, exec_lo, s1
	s_ashr_i32 s22, s22, 2
	s_delay_alu instid0(VALU_DEP_1)
	v_dual_mul_f32 v47, v46, v14 :: v_dual_mov_b32 v52, 0
	s_ashr_i32 s23, s22, 31
	v_dual_mul_f32 v53, v46, v15 :: v_dual_mul_f32 v55, v46, v16
	v_lshl_add_u64 v[44:45], s[22:23], 2, v[44:45]
	v_dual_mul_f32 v87, v46, v11 :: v_dual_mul_f32 v88, v46, v12
	v_dual_mul_f32 v91, v46, v7 :: v_dual_mul_f32 v92, v46, v8
	global_load_b32 v37, v[44:45], off
	v_dual_mul_f32 v93, v46, v9 :: v_dual_mul_f32 v94, v46, v2
	v_dual_mul_f32 v85, v46, v17 :: v_dual_mul_f32 v86, v46, v10
	;; [unrolled: 1-line block ×8, first 2 shown]
	ds_load_b128 v[48:51], v52
	ds_load_b128 v[56:59], v52 offset:16
	v_dual_mul_f32 v100, 0x3fb8aa3b, v85 :: v_dual_mul_f32 v101, 0x3fb8aa3b, v86
	v_dual_mul_f32 v104, 0x3fb8aa3b, v89 :: v_dual_mul_f32 v105, 0x3fb8aa3b, v90
	ds_load_b128 v[60:63], v52 offset:64
	ds_load_b128 v[64:67], v52 offset:80
	;; [unrolled: 1-line block ×6, first 2 shown]
	v_fma_f32 v52, 0x3fb8aa3b, v47, -v84
	v_rndne_f32_e32 v113, v84
	v_fma_f32 v114, 0x3fb8aa3b, v53, -v98
	v_rndne_f32_e32 v115, v98
	;; [unrolled: 2-line block ×4, first 2 shown]
	v_rndne_f32_e32 v133, v107
	v_rndne_f32_e32 v137, v109
	v_dual_mul_f32 v95, v46, v3 :: v_dual_mul_f32 v96, v46, v4
	v_fma_f32 v118, 0x3fb8aa3b, v85, -v100
	v_rndne_f32_e32 v119, v100
	v_rndne_f32_e32 v121, v101
	;; [unrolled: 1-line block ×3, first 2 shown]
	v_fma_f32 v126, 0x3fb8aa3b, v89, -v104
	v_rndne_f32_e32 v127, v104
	v_fma_f32 v130, 0x3fb8aa3b, v91, -v106
	v_rndne_f32_e32 v131, v106
	v_fma_f32 v132, 0x3fb8aa3b, v92, -v107
	v_fma_f32 v134, 0x3fb8aa3b, v93, -v108
	v_rndne_f32_e32 v135, v108
	v_fma_f32 v136, 0x3fb8aa3b, v94, -v109
	v_dual_fmac_f32 v52, 0x32a5705f, v47 :: v_dual_sub_f32 v99, v99, v117
	v_dual_sub_f32 v84, v84, v113 :: v_dual_sub_f32 v98, v98, v115
	v_fmac_f32_e32 v116, 0x32a5705f, v55
	v_dual_fmac_f32 v122, 0x32a5705f, v87 :: v_dual_sub_f32 v107, v107, v133
	v_dual_sub_f32 v102, v102, v123 :: v_dual_sub_f32 v109, v109, v137
	v_fmac_f32_e32 v114, 0x32a5705f, v53
	v_dual_mul_f32 v110, 0x3fb8aa3b, v95 :: v_dual_mul_f32 v111, 0x3fb8aa3b, v96
	v_fma_f32 v120, 0x3fb8aa3b, v86, -v101
	v_fma_f32 v124, 0x3fb8aa3b, v88, -v103
	v_dual_sub_f32 v100, v100, v119 :: v_dual_sub_f32 v103, v103, v125
	v_dual_sub_f32 v101, v101, v121 :: v_dual_sub_f32 v104, v104, v127
	v_dual_sub_f32 v106, v106, v131 :: v_dual_add_f32 v52, v84, v52
	v_fmac_f32_e32 v134, 0x32a5705f, v93
	v_dual_sub_f32 v108, v108, v135 :: v_dual_add_f32 v84, v98, v114
	v_add_f32_e32 v98, v99, v116
	v_fmac_f32_e32 v130, 0x32a5705f, v91
	v_fmac_f32_e32 v126, 0x32a5705f, v89
	;; [unrolled: 1-line block ×3, first 2 shown]
	v_mul_f32_e32 v112, 0x3fb8aa3b, v97
	v_rndne_f32_e32 v129, v105
	v_rndne_f32_e32 v139, v110
	v_rndne_f32_e32 v141, v111
	v_fmac_f32_e32 v120, 0x32a5705f, v86
	v_dual_fmac_f32 v124, 0x32a5705f, v88 :: v_dual_add_f32 v99, v100, v118
	v_rndne_f32_e32 v143, v112
	v_fma_f32 v128, 0x3fb8aa3b, v90, -v105
	v_fma_f32 v138, 0x3fb8aa3b, v95, -v110
	;; [unrolled: 1-line block ×4, first 2 shown]
	v_dual_sub_f32 v105, v105, v129 :: v_dual_sub_f32 v110, v110, v139
	v_dual_add_f32 v100, v101, v120 :: v_dual_sub_f32 v111, v111, v141
	v_dual_sub_f32 v112, v112, v143 :: v_dual_add_f32 v101, v102, v122
	v_dual_add_f32 v102, v103, v124 :: v_dual_add_f32 v103, v104, v126
	v_exp_f32_e32 v84, v84
	v_cvt_i32_f32_e32 v115, v115
	v_exp_f32_e32 v99, v99
	v_cvt_i32_f32_e32 v119, v119
	;; [unrolled: 2-line block ×3, first 2 shown]
	v_cmp_ngt_f32_e64 s0, 0xc2ce8ed0, v53
	v_ldexp_f32 v84, v84, v115
	v_exp_f32_e32 v101, v101
	v_fmac_f32_e32 v128, 0x32a5705f, v90
	v_cvt_i32_f32_e32 v123, v123
	v_ldexp_f32 v99, v99, v119
	v_ldexp_f32 v103, v103, v127
	v_cndmask_b32_e64 v84, 0, v84, s0
	v_cmp_ngt_f32_e64 s0, 0xc2ce8ed0, v85
	v_fmac_f32_e32 v138, 0x32a5705f, v95
	v_fmac_f32_e32 v132, 0x32a5705f, v92
	v_add_f32_e32 v104, v105, v128
	v_ldexp_f32 v101, v101, v123
	v_cndmask_b32_e64 v99, 0, v99, s0
	v_cmp_ngt_f32_e64 s0, 0xc2ce8ed0, v87
	v_exp_f32_e32 v52, v52
	v_cvt_i32_f32_e32 v113, v113
	v_dual_add_f32 v105, v106, v130 :: v_dual_add_f32 v106, v107, v132
	s_delay_alu instid0(VALU_DEP_3)
	v_cndmask_b32_e64 v101, 0, v101, s0
	v_cmp_ngt_f32_e64 s0, 0xc2ce8ed0, v89
	v_exp_f32_e32 v98, v98
	v_cvt_i32_f32_e32 v117, v117
	v_ldexp_f32 v52, v52, v113
	v_exp_f32_e32 v100, v100
	v_cndmask_b32_e64 v103, 0, v103, s0
	v_cmp_ngt_f32_e64 s0, 0xc2ce8ed0, v47
	v_cvt_i32_f32_e32 v121, v121
	v_ldexp_f32 v98, v98, v117
	v_exp_f32_e32 v102, v102
	v_cvt_i32_f32_e32 v125, v125
	v_cndmask_b32_e64 v52, 0, v52, s0
	v_cmp_ngt_f32_e64 s0, 0xc2ce8ed0, v55
	v_ldexp_f32 v100, v100, v121
	v_exp_f32_e32 v104, v104
	v_cvt_i32_f32_e32 v129, v129
	v_ldexp_f32 v102, v102, v125
	v_cndmask_b32_e64 v98, 0, v98, s0
	v_cmp_ngt_f32_e64 s0, 0xc2ce8ed0, v86
	v_exp_f32_e32 v105, v105
	v_cvt_i32_f32_e32 v131, v131
	v_ldexp_f32 v104, v104, v129
	v_exp_f32_e32 v106, v106
	v_cndmask_b32_e64 v100, 0, v100, s0
	v_cmp_ngt_f32_e64 s0, 0xc2ce8ed0, v88
	v_cvt_i32_f32_e32 v133, v133
	v_ldexp_f32 v105, v105, v131
	v_add_f32_e32 v107, v108, v134
	v_cvt_i32_f32_e32 v135, v135
	v_cndmask_b32_e64 v102, 0, v102, s0
	v_cmp_ngt_f32_e64 s0, 0xc2ce8ed0, v90
	v_ldexp_f32 v106, v106, v133
	v_exp_f32_e32 v107, v107
	v_cvt_i32_f32_e32 v137, v137
	v_cvt_i32_f32_e32 v139, v139
	v_cndmask_b32_e64 v104, 0, v104, s0
	v_cmp_ngt_f32_e64 s0, 0xc2ce8ed0, v91
	v_cvt_i32_f32_e32 v141, v141
	v_cvt_i32_f32_e32 v143, v143
	v_ldexp_f32 v107, v107, v135
	s_mov_b32 s14, 0
	v_cndmask_b32_e64 v105, 0, v105, s0
	v_cmp_nlt_f32_e64 s0, 0x42b17218, v47
	s_mov_b32 s15, s6
	v_cndmask_b32_e64 v52, 0x7f800000, v52, s0
	v_cmp_nlt_f32_e64 s0, 0x42b17218, v53
	s_delay_alu instid0(VALU_DEP_1) | instskip(SKIP_2) | instid1(VALU_DEP_1)
	v_cndmask_b32_e64 v53, 0x7f800000, v84, s0
	v_cmp_ngt_f32_e64 s0, 0xc2ce8ed0, v92
	s_wait_loadcnt 0x0
	v_dual_mul_f32 v46, v46, v37 :: v_dual_cndmask_b32 v37, 0, v106, s0
	v_cmp_nlt_f32_e64 s0, 0x42b17218, v55
	s_wait_dscnt 0x7
	s_delay_alu instid0(VALU_DEP_2) | instskip(SKIP_1) | instid1(VALU_DEP_3)
	v_pk_mul_f32 v[48:49], v[46:47], v[48:49] op_sel_hi:[0,1]
	v_pk_mul_f32 v[50:51], v[46:47], v[50:51] op_sel_hi:[0,1]
	v_cndmask_b32_e64 v84, 0x7f800000, v98, s0
	v_cmp_nlt_f32_e64 s0, 0x42b17218, v85
	s_delay_alu instid0(VALU_DEP_4) | instskip(NEXT) | instid1(VALU_DEP_2)
	v_pk_fma_f32 v[42:43], v[42:43], v[52:53], v[48:49]
	v_cndmask_b32_e64 v85, 0x7f800000, v99, s0
	v_cmp_nlt_f32_e64 s0, 0x42b17218, v86
	s_wait_dscnt 0x5
	s_delay_alu instid0(VALU_DEP_3) | instskip(NEXT) | instid1(VALU_DEP_3)
	v_fma_f32 v47, v60, v42, 0
	v_pk_fma_f32 v[32:33], v[32:33], v[84:85], v[50:51]
	s_delay_alu instid0(VALU_DEP_3) | instskip(SKIP_1) | instid1(VALU_DEP_4)
	v_cndmask_b32_e64 v48, 0x7f800000, v100, s0
	v_cmp_nlt_f32_e64 s0, 0x42b17218, v87
	v_pk_mul_f32 v[52:53], v[46:47], v[56:57] op_sel_hi:[0,1]
	v_dual_fmac_f32 v47, v61, v43 :: v_dual_fmac_f32 v136, 0x32a5705f, v94
	s_delay_alu instid0(VALU_DEP_3) | instskip(SKIP_1) | instid1(VALU_DEP_3)
	v_cndmask_b32_e64 v49, 0x7f800000, v101, s0
	v_cmp_ngt_f32_e64 s0, 0xc2ce8ed0, v93
	v_fmac_f32_e32 v47, v62, v32
	s_delay_alu instid0(VALU_DEP_4) | instskip(NEXT) | instid1(VALU_DEP_4)
	v_add_f32_e32 v108, v109, v136
	v_pk_fma_f32 v[30:31], v[30:31], v[48:49], v[52:53]
	s_delay_alu instid0(VALU_DEP_4) | instskip(SKIP_1) | instid1(VALU_DEP_4)
	v_cndmask_b32_e64 v55, 0, v107, s0
	v_cmp_nlt_f32_e64 s0, 0x42b17218, v88
	v_exp_f32_e32 v108, v108
	v_pk_mul_f32 v[48:49], v[46:47], v[58:59] op_sel_hi:[0,1]
	s_wait_dscnt 0x4
	v_pk_mul_f32 v[52:53], v[64:65], v[30:31]
	v_fmac_f32_e32 v47, v63, v33
	v_cndmask_b32_e64 v50, 0x7f800000, v102, s0
	v_cmp_nlt_f32_e64 s0, 0x42b17218, v89
	v_fmac_f32_e32 v142, 0x32a5705f, v97
	v_ldexp_f32 v108, v108, v137
	v_dual_add_f32 v47, v47, v52 :: v_dual_add_f32 v109, v110, v138
	s_delay_alu instid0(VALU_DEP_4) | instskip(SKIP_2) | instid1(VALU_DEP_4)
	v_cndmask_b32_e64 v51, 0x7f800000, v103, s0
	v_cmp_ngt_f32_e64 s0, 0xc2ce8ed0, v94
	v_fmac_f32_e32 v140, 0x32a5705f, v96
	v_exp_f32_e32 v109, v109
	s_delay_alu instid0(VALU_DEP_3) | instskip(SKIP_3) | instid1(VALU_DEP_3)
	v_pk_fma_f32 v[26:27], v[26:27], v[50:51], v[48:49]
	s_wait_dscnt 0x3
	v_pk_mul_f32 v[48:49], v[46:47], v[68:69] op_sel_hi:[0,1]
	v_add_f32_e32 v47, v47, v53
	v_pk_mul_f32 v[50:51], v[66:67], v[26:27]
	v_cndmask_b32_e64 v58, 0, v108, s0
	v_cmp_nlt_f32_e64 s0, 0x42b17218, v90
	v_ldexp_f32 v109, v109, v139
	s_delay_alu instid0(VALU_DEP_2) | instskip(SKIP_1) | instid1(VALU_DEP_1)
	v_cndmask_b32_e64 v56, 0x7f800000, v104, s0
	v_cmp_nlt_f32_e64 s0, 0x42b17218, v91
	v_cndmask_b32_e64 v57, 0x7f800000, v105, s0
	v_cmp_ngt_f32_e64 s0, 0xc2ce8ed0, v95
	v_dual_add_f32 v110, v111, v140 :: v_dual_add_f32 v111, v112, v142
	s_delay_alu instid0(VALU_DEP_3) | instskip(NEXT) | instid1(VALU_DEP_3)
	v_pk_fma_f32 v[22:23], v[22:23], v[56:57], v[48:49]
	v_cndmask_b32_e64 v59, 0, v109, s0
	v_cmp_nlt_f32_e64 s0, 0x42b17218, v92
	s_delay_alu instid0(VALU_DEP_4)
	v_exp_f32_e32 v110, v110
	v_pk_mul_f32 v[48:49], v[46:47], v[70:71] op_sel_hi:[0,1]
	v_exp_f32_e32 v111, v111
	s_wait_dscnt 0x1
	v_pk_mul_f32 v[56:57], v[76:77], v[22:23]
	v_cndmask_b32_e64 v52, 0x7f800000, v37, s0
	v_cmp_nlt_f32_e64 s0, 0x42b17218, v93
	v_add_f32_e32 v37, v47, v50
	v_ldexp_f32 v110, v110, v141
	v_ldexp_f32 v111, v111, v143
	s_delay_alu instid0(VALU_DEP_4) | instskip(SKIP_2) | instid1(VALU_DEP_3)
	v_cndmask_b32_e64 v53, 0x7f800000, v55, s0
	v_cmp_ngt_f32_e64 s0, 0xc2ce8ed0, v96
	v_add_f32_e32 v37, v37, v51
	v_pk_fma_f32 v[24:25], v[24:25], v[52:53], v[48:49]
	s_delay_alu instid0(VALU_DEP_3) | instskip(SKIP_1) | instid1(VALU_DEP_3)
	v_cndmask_b32_e64 v47, 0, v110, s0
	v_cmp_nlt_f32_e64 s0, 0x42b17218, v94
	v_pk_mul_f32 v[52:53], v[78:79], v[24:25]
	s_delay_alu instid0(VALU_DEP_3) | instskip(NEXT) | instid1(VALU_DEP_3)
	v_pk_mul_f32 v[48:49], v[46:47], v[72:73] op_sel_hi:[0,1]
	v_cndmask_b32_e64 v50, 0x7f800000, v58, s0
	v_cmp_nlt_f32_e64 s0, 0x42b17218, v95
	s_delay_alu instid0(VALU_DEP_1) | instskip(SKIP_2) | instid1(VALU_DEP_3)
	v_cndmask_b32_e64 v51, 0x7f800000, v59, s0
	v_cmp_ngt_f32_e64 s0, 0xc2ce8ed0, v97
	v_add_f32_e32 v37, v37, v56
	v_pk_fma_f32 v[18:19], v[18:19], v[50:51], v[48:49]
	s_delay_alu instid0(VALU_DEP_2) | instskip(SKIP_2) | instid1(VALU_DEP_3)
	v_dual_cndmask_b32 v55, 0, v111, s0 :: v_dual_add_f32 v37, v37, v57
	v_cmp_nlt_f32_e64 s0, 0x42b17218, v96
	s_wait_dscnt 0x0
	v_pk_mul_f32 v[48:49], v[80:81], v[18:19]
	s_delay_alu instid0(VALU_DEP_3) | instskip(NEXT) | instid1(VALU_DEP_3)
	v_add_f32_e32 v37, v37, v52
	v_cndmask_b32_e64 v56, 0x7f800000, v47, s0
	v_cmp_nlt_f32_e64 s0, 0x42b17218, v97
	v_pk_mul_f32 v[46:47], v[46:47], v[74:75] op_sel_hi:[0,1]
	s_delay_alu instid0(VALU_DEP_4) | instskip(NEXT) | instid1(VALU_DEP_3)
	v_add_f32_e32 v37, v37, v53
	v_cndmask_b32_e64 v57, 0x7f800000, v55, s0
	s_ashr_i64 s[0:1], s[14:15], 30
	s_delay_alu instid0(VALU_DEP_2) | instskip(NEXT) | instid1(VALU_DEP_2)
	v_add_f32_e32 v37, v37, v48
	v_pk_fma_f32 v[20:21], v[20:21], v[56:57], v[46:47]
	s_delay_alu instid0(VALU_DEP_2) | instskip(SKIP_1) | instid1(VALU_DEP_3)
	v_add_f32_e32 v37, v37, v49
	v_add_nc_u64_e32 v[48:49], s[0:1], v[0:1]
	v_pk_mul_f32 v[46:47], v[82:83], v[20:21]
	s_delay_alu instid0(VALU_DEP_1) | instskip(NEXT) | instid1(VALU_DEP_1)
	v_add_f32_e32 v37, v37, v46
	v_add_f32_e32 v37, v37, v47
	global_store_b32 v[48:49], v37, off
	s_wait_storecnt 0x0
	s_barrier_signal -1
	s_barrier_wait -1
	s_wait_xcnt 0x0
	s_and_saveexec_b32 s0, vcc_lo
	s_cbranch_execz .LBB7_10
; %bb.9:
	v_lshl_add_u64 v[46:47], s[8:9], 3, v[40:41]
	v_lshl_add_u64 v[48:49], s[2:3], 3, v[38:39]
	global_load_b32 v37, v[46:47], off
	global_load_b32 v50, v[48:49], off
	s_wait_loadcnt 0x1
	ds_store_b32 v36, v37
	s_wait_loadcnt 0x0
	ds_store_b32 v54, v50
.LBB7_10:
	s_or_b32 exec_lo, exec_lo, s0
	s_lshl_b64 s[16:17], s[12:13], 2
	s_wait_dscnt 0x0
	v_add_nc_u64_e32 v[28:29], s[16:17], v[28:29]
	s_barrier_signal -1
	s_barrier_wait -1
	s_mov_b32 s1, exec_lo
	global_load_b32 v37, v[28:29], off
	s_wait_loadcnt 0x0
	v_cmpx_ge_f32_e32 0x41a00000, v37
	s_cbranch_execz .LBB7_12
; %bb.11:
	v_mul_f32_e32 v46, 0x3fb8aa3b, v37
	v_cmp_ngt_f32_e64 s0, 0xc2ce8ed0, v37
	s_delay_alu instid0(VALU_DEP_2) | instskip(SKIP_1) | instid1(VALU_DEP_2)
	v_rndne_f32_e32 v47, v46
	v_fma_f32 v48, 0x3fb8aa3b, v37, -v46
	v_sub_f32_e32 v46, v46, v47
	s_delay_alu instid0(VALU_DEP_2) | instskip(SKIP_1) | instid1(VALU_DEP_2)
	v_fmamk_f32 v48, v37, 0x32a5705f, v48
	v_cvt_i32_f32_e32 v47, v47
	v_add_f32_e32 v46, v46, v48
	s_delay_alu instid0(VALU_DEP_1) | instskip(SKIP_1) | instid1(TRANS32_DEP_1)
	v_exp_f32_e32 v46, v46
	v_nop
	v_ldexp_f32 v46, v46, v47
	s_delay_alu instid0(VALU_DEP_1) | instskip(SKIP_1) | instid1(VALU_DEP_1)
	v_cndmask_b32_e64 v46, 0, v46, s0
	v_cmp_nlt_f32_e64 s0, 0x42b17218, v37
	v_cndmask_b32_e64 v55, 0x7f800000, v46, s0
	s_delay_alu instid0(VALU_DEP_1) | instskip(NEXT) | instid1(VALU_DEP_1)
	v_add_f32_e32 v37, 1.0, v55
	v_cvt_f64_f32_e32 v[46:47], v37
	s_delay_alu instid0(VALU_DEP_1) | instskip(SKIP_1) | instid1(VALU_DEP_1)
	v_frexp_exp_i32_f64_e32 v46, v[46:47]
	v_frexp_mant_f32_e32 v47, v37
	v_cmp_gt_f32_e64 s0, 0x3f2aaaab, v47
	s_delay_alu instid0(VALU_DEP_1) | instskip(SKIP_2) | instid1(VALU_DEP_1)
	v_subrev_co_ci_u32_e64 v52, null, 0, v46, s0
	v_add_f32_e32 v46, -1.0, v37
	s_mov_b32 s0, 0x3e9b6dac
	v_dual_sub_f32 v48, v46, v37 :: v_dual_sub_nc_u32 v47, 0, v52
	s_delay_alu instid0(VALU_DEP_1) | instskip(NEXT) | instid1(VALU_DEP_1)
	v_ldexp_f32 v37, v37, v47
	v_dual_add_f32 v49, 1.0, v37 :: v_dual_add_f32 v51, -1.0, v37
	s_delay_alu instid0(VALU_DEP_3) | instskip(NEXT) | instid1(VALU_DEP_1)
	v_dual_sub_f32 v46, v55, v46 :: v_dual_add_f32 v48, 1.0, v48
	v_dual_add_f32 v46, v46, v48 :: v_dual_add_f32 v48, -1.0, v49
	s_delay_alu instid0(VALU_DEP_1) | instskip(NEXT) | instid1(VALU_DEP_2)
	v_ldexp_f32 v46, v46, v47
	v_sub_f32_e32 v47, v37, v48
	s_delay_alu instid0(VALU_DEP_1) | instskip(NEXT) | instid1(VALU_DEP_1)
	v_add_f32_e32 v50, v46, v47
	v_dual_add_f32 v48, 1.0, v51 :: v_dual_add_f32 v53, v49, v50
	s_delay_alu instid0(VALU_DEP_1) | instskip(NEXT) | instid1(VALU_DEP_2)
	v_sub_f32_e32 v37, v37, v48
	v_rcp_f32_e32 v56, v53
	s_delay_alu instid0(VALU_DEP_1) | instskip(SKIP_1) | instid1(VALU_DEP_1)
	v_add_f32_e32 v37, v46, v37
	v_sub_f32_e32 v46, v49, v53
	v_dual_add_f32 v47, v51, v37 :: v_dual_add_f32 v58, v50, v46
	s_delay_alu instid0(TRANS32_DEP_1) | instid1(VALU_DEP_1)
	v_mul_f32_e32 v57, v47, v56
	s_delay_alu instid0(VALU_DEP_1) | instskip(NEXT) | instid1(VALU_DEP_1)
	v_dual_sub_f32 v59, v51, v47 :: v_dual_mul_f32 v48, v53, v57
	v_add_f32_e32 v37, v37, v59
	s_delay_alu instid0(VALU_DEP_2) | instskip(NEXT) | instid1(VALU_DEP_1)
	v_fma_f32 v50, v57, v53, -v48
	v_fmac_f32_e32 v50, v57, v58
	s_delay_alu instid0(VALU_DEP_1) | instskip(NEXT) | instid1(VALU_DEP_1)
	v_add_f32_e32 v46, v48, v50
	v_dual_sub_f32 v49, v47, v46 :: v_dual_mov_b32 v51, v46
	s_delay_alu instid0(VALU_DEP_1) | instskip(NEXT) | instid1(VALU_DEP_1)
	v_pk_add_f32 v[46:47], v[46:47], v[48:49] neg_lo:[0,1] neg_hi:[0,1]
	v_pk_add_f32 v[46:47], v[46:47], v[50:51] neg_lo:[0,1] neg_hi:[0,1]
	s_delay_alu instid0(VALU_DEP_1) | instskip(NEXT) | instid1(VALU_DEP_1)
	v_add_f32_e32 v37, v37, v47
	v_add_f32_e32 v37, v46, v37
	s_delay_alu instid0(VALU_DEP_1) | instskip(NEXT) | instid1(VALU_DEP_1)
	v_add_f32_e32 v47, v49, v37
	v_mul_f32_e32 v59, v56, v47
	s_delay_alu instid0(VALU_DEP_1) | instskip(NEXT) | instid1(VALU_DEP_1)
	v_mul_f32_e32 v50, v53, v59
	v_fma_f32 v48, v59, v53, -v50
	s_delay_alu instid0(VALU_DEP_1) | instskip(NEXT) | instid1(VALU_DEP_1)
	v_dual_fmac_f32 v48, v59, v58 :: v_dual_sub_f32 v53, v49, v47
	v_dual_add_f32 v46, v50, v48 :: v_dual_add_f32 v37, v37, v53
	s_delay_alu instid0(VALU_DEP_1) | instskip(NEXT) | instid1(VALU_DEP_1)
	v_dual_sub_f32 v51, v47, v46 :: v_dual_mov_b32 v49, v46
	v_pk_add_f32 v[46:47], v[46:47], v[50:51] neg_lo:[0,1] neg_hi:[0,1]
	s_delay_alu instid0(VALU_DEP_1) | instskip(SKIP_1) | instid1(VALU_DEP_2)
	v_pk_add_f32 v[46:47], v[46:47], v[48:49] neg_lo:[0,1] neg_hi:[0,1]
	v_cvt_f32_i32_e32 v48, v52
	v_add_f32_e32 v37, v37, v47
	s_delay_alu instid0(VALU_DEP_1) | instskip(NEXT) | instid1(VALU_DEP_1)
	v_dual_add_f32 v50, v57, v59 :: v_dual_add_f32 v37, v46, v37
	v_sub_f32_e32 v46, v50, v57
	s_delay_alu instid0(VALU_DEP_2) | instskip(NEXT) | instid1(VALU_DEP_1)
	v_add_f32_e32 v37, v51, v37
	v_dual_sub_f32 v46, v59, v46 :: v_dual_mul_f32 v37, v56, v37
	s_delay_alu instid0(VALU_DEP_1) | instskip(NEXT) | instid1(VALU_DEP_1)
	v_dual_add_f32 v37, v46, v37 :: v_dual_mov_b32 v46, 0x3f317218
	v_add_f32_e32 v51, v50, v37
	s_delay_alu instid0(VALU_DEP_1) | instskip(NEXT) | instid1(VALU_DEP_1)
	v_mul_f32_e32 v47, v51, v51
	v_fmaak_f32 v53, s0, v47, 0x3ecc95a3
	v_mul_f32_e32 v49, v51, v47
	v_cmp_neq_f32_e64 s0, 0x7f800000, v55
	s_delay_alu instid0(VALU_DEP_3) | instskip(NEXT) | instid1(VALU_DEP_1)
	v_fmaak_f32 v47, v47, v53, 0x3f2aaada
	v_pk_mul_f32 v[46:47], v[48:49], v[46:47]
	s_delay_alu instid0(VALU_DEP_1) | instskip(NEXT) | instid1(VALU_DEP_1)
	v_fma_f32 v52, 0x3f317218, v48, -v46
	v_fmamk_f32 v48, v48, 0xb102e308, v52
	v_ldexp_f32 v49, v51, 1
	v_sub_f32_e32 v52, v51, v50
	s_delay_alu instid0(VALU_DEP_2) | instskip(NEXT) | instid1(VALU_DEP_2)
	v_pk_add_f32 v[50:51], v[46:47], v[48:49]
	v_dual_sub_f32 v37, v37, v52 :: v_dual_mov_b32 v52, v46
	s_delay_alu instid0(VALU_DEP_2) | instskip(NEXT) | instid1(VALU_DEP_2)
	v_sub_f32_e32 v49, v51, v49
	v_ldexp_f32 v37, v37, 1
	v_mov_b32_e32 v62, v51
	s_delay_alu instid0(VALU_DEP_3) | instskip(SKIP_1) | instid1(VALU_DEP_2)
	v_sub_f32_e32 v49, v47, v49
	v_pk_add_f32 v[46:47], v[50:51], v[46:47] neg_lo:[0,1] neg_hi:[0,1]
	v_dual_add_f32 v53, v37, v49 :: v_dual_mov_b32 v49, v50
	s_delay_alu instid0(VALU_DEP_1) | instskip(NEXT) | instid1(VALU_DEP_1)
	v_pk_add_f32 v[56:57], v[50:51], v[52:53]
	v_mov_b32_e32 v47, v57
	s_delay_alu instid0(VALU_DEP_1) | instskip(SKIP_1) | instid1(VALU_DEP_2)
	v_pk_add_f32 v[58:59], v[48:49], v[46:47]
	v_pk_add_f32 v[46:47], v[48:49], v[46:47] neg_lo:[0,1] neg_hi:[0,1]
	v_dual_mov_b32 v52, v59 :: v_dual_mov_b32 v47, v59
	s_delay_alu instid0(VALU_DEP_1) | instskip(SKIP_1) | instid1(VALU_DEP_2)
	v_pk_add_f32 v[60:61], v[52:53], v[50:51] neg_lo:[0,1] neg_hi:[0,1]
	v_dual_mov_b32 v58, v57 :: v_dual_mov_b32 v51, v50
	v_dual_mov_b32 v50, v53 :: v_dual_mov_b32 v63, v60
	v_mov_b32_e32 v37, v60
	s_delay_alu instid0(VALU_DEP_2) | instskip(NEXT) | instid1(VALU_DEP_2)
	v_pk_add_f32 v[60:61], v[58:59], v[62:63] neg_lo:[0,1] neg_hi:[0,1]
	v_pk_add_f32 v[48:49], v[56:57], v[36:37] neg_lo:[0,1] neg_hi:[0,1]
	v_mov_b32_e32 v48, v46
	s_delay_alu instid0(VALU_DEP_3) | instskip(NEXT) | instid1(VALU_DEP_1)
	v_pk_add_f32 v[50:51], v[50:51], v[60:61] neg_lo:[0,1] neg_hi:[0,1]
	v_pk_add_f32 v[48:49], v[48:49], v[50:51]
	s_delay_alu instid0(VALU_DEP_1) | instskip(NEXT) | instid1(VALU_DEP_1)
	v_mov_b32_e32 v56, v49
	v_pk_add_f32 v[56:57], v[48:49], v[56:57]
	s_delay_alu instid0(VALU_DEP_1) | instskip(NEXT) | instid1(VALU_DEP_1)
	v_pk_add_f32 v[52:53], v[52:53], v[56:57]
	v_dual_mov_b32 v51, v56 :: v_dual_mov_b32 v49, v52
	s_delay_alu instid0(VALU_DEP_1) | instskip(NEXT) | instid1(VALU_DEP_1)
	v_pk_add_f32 v[58:59], v[48:49], v[46:47] neg_lo:[0,1] neg_hi:[0,1]
	v_sub_f32_e32 v37, v48, v58
	s_delay_alu instid0(VALU_DEP_2) | instskip(NEXT) | instid1(VALU_DEP_2)
	v_pk_add_f32 v[48:49], v[50:51], v[58:59] neg_lo:[0,1] neg_hi:[0,1]
	v_sub_f32_e32 v37, v46, v37
	s_delay_alu instid0(VALU_DEP_1) | instskip(NEXT) | instid1(VALU_DEP_1)
	v_add_f32_e32 v37, v48, v37
	v_add_f32_e32 v37, v37, v49
	s_delay_alu instid0(VALU_DEP_1) | instskip(NEXT) | instid1(VALU_DEP_1)
	v_add_f32_e32 v37, v52, v37
	v_cndmask_b32_e64 v37, 0x7f800000, v37, s0
	v_cmp_gt_f32_e64 s0, 0x33800000, v55
	s_delay_alu instid0(VALU_DEP_1)
	v_cndmask_b32_e64 v37, v37, v55, s0
.LBB7_12:
	s_or_b32 exec_lo, exec_lo, s1
	s_lshl_b64 s[12:13], s[22:23], 2
	s_delay_alu instid0(VALU_DEP_1)
	v_dual_mul_f32 v81, v37, v14 :: v_dual_mov_b32 v76, 0
	v_add_nc_u64_e32 v[44:45], s[12:13], v[44:45]
	v_dual_mul_f32 v83, v37, v15 :: v_dual_mul_f32 v84, v37, v16
	v_dual_mul_f32 v85, v37, v17 :: v_dual_mul_f32 v86, v37, v10
	;; [unrolled: 1-line block ×3, first 2 shown]
	global_load_b32 v55, v[44:45], off
	v_dual_mul_f32 v89, v37, v13 :: v_dual_mul_f32 v90, v37, v6
	v_dual_mul_f32 v93, v37, v9 :: v_dual_mul_f32 v94, v37, v2
	;; [unrolled: 1-line block ×6, first 2 shown]
	s_delay_alu instid0(VALU_DEP_3)
	v_dual_mul_f32 v102, 0x3fb8aa3b, v88 :: v_dual_mul_f32 v105, 0x3fb8aa3b, v91
	v_dual_mul_f32 v104, 0x3fb8aa3b, v90 :: v_dual_mul_f32 v107, 0x3fb8aa3b, v93
	v_fma_f32 v112, 0x3fb8aa3b, v81, -v80
	v_rndne_f32_e32 v113, v80
	v_dual_mul_f32 v95, v37, v3 :: v_dual_mul_f32 v96, v37, v4
	v_fma_f32 v114, 0x3fb8aa3b, v83, -v82
	v_rndne_f32_e32 v115, v82
	v_fma_f32 v118, 0x3fb8aa3b, v85, -v99
	v_rndne_f32_e32 v119, v99
	v_rndne_f32_e32 v123, v101
	;; [unrolled: 1-line block ×4, first 2 shown]
	v_fmac_f32_e32 v112, 0x32a5705f, v81
	v_dual_sub_f32 v80, v80, v113 :: v_dual_sub_f32 v82, v82, v115
	v_dual_mul_f32 v100, 0x3fb8aa3b, v86 :: v_dual_mul_f32 v103, 0x3fb8aa3b, v89
	v_dual_mul_f32 v108, 0x3fb8aa3b, v94 :: v_dual_mul_f32 v111, 0x3fb8aa3b, v97
	v_dual_mul_f32 v110, 0x3fb8aa3b, v96 :: v_dual_sub_f32 v99, v99, v119
	v_fma_f32 v116, 0x3fb8aa3b, v84, -v98
	v_rndne_f32_e32 v117, v98
	v_fma_f32 v122, 0x3fb8aa3b, v87, -v101
	v_fma_f32 v124, 0x3fb8aa3b, v88, -v102
	v_rndne_f32_e32 v129, v104
	v_fma_f32 v134, 0x3fb8aa3b, v93, -v107
	v_dual_fmac_f32 v118, 0x32a5705f, v85 :: v_dual_sub_f32 v107, v107, v135
	v_fmac_f32_e32 v114, 0x32a5705f, v83
	v_dual_sub_f32 v101, v101, v123 :: v_dual_sub_f32 v102, v102, v125
	v_add_f32_e32 v80, v80, v112
	v_rndne_f32_e32 v121, v100
	v_fma_f32 v142, 0x3fb8aa3b, v97, -v111
	v_rndne_f32_e32 v143, v111
	v_rndne_f32_e32 v127, v103
	v_fma_f32 v128, 0x3fb8aa3b, v90, -v104
	v_rndne_f32_e32 v131, v105
	v_rndne_f32_e32 v137, v108
	v_fmac_f32_e32 v116, 0x32a5705f, v84
	v_dual_sub_f32 v98, v98, v117 :: v_dual_add_f32 v99, v99, v118
	v_dual_sub_f32 v104, v104, v129 :: v_dual_add_f32 v82, v82, v114
	v_exp_f32_e32 v80, v80
	v_fma_f32 v120, 0x3fb8aa3b, v86, -v100
	v_fma_f32 v126, 0x3fb8aa3b, v89, -v103
	;; [unrolled: 1-line block ×3, first 2 shown]
	v_dual_sub_f32 v100, v100, v121 :: v_dual_sub_f32 v111, v111, v143
	v_cvt_i32_f32_e32 v113, v113
	v_fmac_f32_e32 v142, 0x32a5705f, v97
	v_fmac_f32_e32 v134, 0x32a5705f, v93
	v_dual_mul_f32 v106, 0x3fb8aa3b, v92 :: v_dual_mul_f32 v109, 0x3fb8aa3b, v95
	v_fma_f32 v136, 0x3fb8aa3b, v94, -v108
	v_sub_f32_e32 v103, v103, v127
	v_dual_sub_f32 v105, v105, v131 :: v_dual_sub_f32 v108, v108, v137
	v_add_f32_e32 v98, v98, v116
	v_exp_f32_e32 v82, v82
	v_exp_f32_e32 v99, v99
	v_cvt_i32_f32_e32 v115, v115
	v_cvt_i32_f32_e32 v119, v119
	v_dual_add_f32 v111, v111, v142 :: v_dual_fmac_f32 v130, 0x32a5705f, v91
	v_dual_add_f32 v107, v107, v134 :: v_dual_fmac_f32 v126, 0x32a5705f, v89
	v_ldexp_f32 v80, v80, v113
	v_cmp_ngt_f32_e64 s0, 0xc2ce8ed0, v81
	v_rndne_f32_e32 v133, v106
	v_rndne_f32_e32 v139, v109
	v_fmac_f32_e32 v120, 0x32a5705f, v86
	v_exp_f32_e32 v98, v98
	v_fma_f32 v132, 0x3fb8aa3b, v92, -v106
	v_fma_f32 v138, 0x3fb8aa3b, v95, -v109
	v_cvt_i32_f32_e32 v117, v117
	v_dual_add_f32 v105, v105, v130 :: v_dual_fmac_f32 v122, 0x32a5705f, v87
	v_dual_add_f32 v103, v103, v126 :: v_dual_fmac_f32 v124, 0x32a5705f, v88
	v_ldexp_f32 v82, v82, v115
	v_ldexp_f32 v99, v99, v119
	v_cndmask_b32_e64 v112, 0, v80, s0
	v_cmp_ngt_f32_e64 s0, 0xc2ce8ed0, v83
	v_dual_sub_f32 v109, v109, v139 :: v_dual_sub_f32 v106, v106, v133
	v_add_f32_e32 v100, v100, v120
	ds_load_b128 v[46:49], v76
	ds_load_b128 v[50:53], v76 offset:16
	ds_load_b128 v[56:59], v76 offset:32
	;; [unrolled: 1-line block ×7, first 2 shown]
	v_fmac_f32_e32 v138, 0x32a5705f, v95
	v_dual_fmac_f32 v132, 0x32a5705f, v92 :: v_dual_add_f32 v101, v101, v122
	v_dual_add_f32 v102, v102, v124 :: v_dual_cndmask_b32 v113, 0, v82, s0
	v_ldexp_f32 v98, v98, v117
	v_cmp_ngt_f32_e64 s0, 0xc2ce8ed0, v84
	v_exp_f32_e32 v100, v100
	v_cvt_i32_f32_e32 v121, v121
	v_dual_add_f32 v109, v109, v138 :: v_dual_add_f32 v106, v106, v132
	s_delay_alu instid0(VALU_DEP_3)
	v_cndmask_b32_e64 v98, 0, v98, s0
	v_cmp_ngt_f32_e64 s0, 0xc2ce8ed0, v85
	v_exp_f32_e32 v101, v101
	v_cvt_i32_f32_e32 v123, v123
	v_ldexp_f32 v100, v100, v121
	v_rndne_f32_e32 v141, v110
	v_cndmask_b32_e64 v99, 0, v99, s0
	v_cmp_ngt_f32_e64 s0, 0xc2ce8ed0, v86
	v_fmac_f32_e32 v128, 0x32a5705f, v90
	v_exp_f32_e32 v102, v102
	v_cvt_i32_f32_e32 v125, v125
	v_ldexp_f32 v101, v101, v123
	v_cndmask_b32_e64 v100, 0, v100, s0
	v_cmp_ngt_f32_e64 s0, 0xc2ce8ed0, v87
	v_fma_f32 v140, 0x3fb8aa3b, v96, -v110
	v_dual_sub_f32 v110, v110, v141 :: v_dual_add_f32 v104, v104, v128
	v_exp_f32_e32 v103, v103
	v_cvt_i32_f32_e32 v127, v127
	v_ldexp_f32 v102, v102, v125
	v_cndmask_b32_e64 v101, 0, v101, s0
	v_cmp_ngt_f32_e64 s0, 0xc2ce8ed0, v88
	v_exp_f32_e32 v104, v104
	v_cvt_i32_f32_e32 v129, v129
	v_ldexp_f32 v103, v103, v127
	v_exp_f32_e32 v105, v105
	v_cndmask_b32_e64 v102, 0, v102, s0
	v_cmp_ngt_f32_e64 s0, 0xc2ce8ed0, v89
	v_cvt_i32_f32_e32 v131, v131
	v_ldexp_f32 v104, v104, v129
	v_exp_f32_e32 v106, v106
	v_cvt_i32_f32_e32 v133, v133
	v_cndmask_b32_e64 v103, 0, v103, s0
	v_cmp_ngt_f32_e64 s0, 0xc2ce8ed0, v90
	v_ldexp_f32 v105, v105, v131
	v_exp_f32_e32 v107, v107
	v_cvt_i32_f32_e32 v135, v135
	v_ldexp_f32 v106, v106, v133
	v_cndmask_b32_e64 v104, 0, v104, s0
	v_cmp_ngt_f32_e64 s0, 0xc2ce8ed0, v91
	v_cvt_i32_f32_e32 v137, v137
	v_exp_f32_e32 v109, v109
	v_ldexp_f32 v107, v107, v135
	v_cvt_i32_f32_e32 v139, v139
	v_cndmask_b32_e64 v105, 0, v105, s0
	v_cmp_nlt_f32_e64 s0, 0x42b17218, v81
	v_cvt_i32_f32_e32 v141, v141
	v_exp_f32_e32 v111, v111
	v_ldexp_f32 v109, v109, v139
	v_cvt_i32_f32_e32 v143, v143
	v_cndmask_b32_e64 v82, 0x7f800000, v112, s0
	v_cmp_nlt_f32_e64 s0, 0x42b17218, v83
	s_delay_alu instid0(TRANS32_DEP_1) | instid1(VALU_DEP_3)
	v_ldexp_f32 v111, v111, v143
	s_delay_alu instid0(VALU_DEP_2) | instskip(SKIP_2) | instid1(VALU_DEP_1)
	v_cndmask_b32_e64 v83, 0x7f800000, v113, s0
	v_cmp_ngt_f32_e64 s0, 0xc2ce8ed0, v92
	s_wait_loadcnt 0x0
	v_dual_mul_f32 v80, v37, v55 :: v_dual_cndmask_b32 v37, 0, v106, s0
	v_cmp_nlt_f32_e64 s0, 0x42b17218, v84
	s_wait_dscnt 0x7
	s_delay_alu instid0(VALU_DEP_2) | instskip(SKIP_1) | instid1(VALU_DEP_3)
	v_pk_mul_f32 v[46:47], v[80:81], v[46:47] op_sel_hi:[0,1]
	v_pk_mul_f32 v[48:49], v[80:81], v[48:49] op_sel_hi:[0,1]
	v_cndmask_b32_e64 v84, 0x7f800000, v98, s0
	v_cmp_nlt_f32_e64 s0, 0x42b17218, v85
	s_wait_dscnt 0x6
	v_pk_mul_f32 v[50:51], v[80:81], v[50:51] op_sel_hi:[0,1]
	v_pk_fma_f32 v[42:43], v[42:43], v[82:83], v[46:47]
	s_delay_alu instid0(VALU_DEP_3) | instskip(SKIP_2) | instid1(VALU_DEP_3)
	v_cndmask_b32_e64 v85, 0x7f800000, v99, s0
	v_cmp_nlt_f32_e64 s0, 0x42b17218, v86
	s_wait_dscnt 0x3
	v_fma_f32 v55, v64, v42, 0
	s_delay_alu instid0(VALU_DEP_3) | instskip(NEXT) | instid1(VALU_DEP_3)
	v_pk_fma_f32 v[32:33], v[32:33], v[84:85], v[48:49]
	v_cndmask_b32_e64 v46, 0x7f800000, v100, s0
	v_cmp_nlt_f32_e64 s0, 0x42b17218, v87
	s_delay_alu instid0(VALU_DEP_4) | instskip(NEXT) | instid1(VALU_DEP_2)
	v_dual_fmac_f32 v55, v65, v43 :: v_dual_fmac_f32 v136, 0x32a5705f, v94
	v_cndmask_b32_e64 v47, 0x7f800000, v101, s0
	v_cmp_ngt_f32_e64 s0, 0xc2ce8ed0, v93
	s_delay_alu instid0(VALU_DEP_3) | instskip(NEXT) | instid1(VALU_DEP_4)
	v_fmac_f32_e32 v55, v66, v32
	v_add_f32_e32 v108, v108, v136
	s_delay_alu instid0(VALU_DEP_4) | instskip(NEXT) | instid1(VALU_DEP_4)
	v_pk_fma_f32 v[46:47], v[30:31], v[46:47], v[50:51]
	v_cndmask_b32_e64 v64, 0, v107, s0
	v_cmp_nlt_f32_e64 s0, 0x42b17218, v88
	s_delay_alu instid0(VALU_DEP_4)
	v_exp_f32_e32 v108, v108
	v_fmac_f32_e32 v55, v67, v33
	s_wait_dscnt 0x2
	v_pk_mul_f32 v[50:51], v[68:69], v[46:47]
	v_pk_mul_f32 v[30:31], v[80:81], v[52:53] op_sel_hi:[0,1]
	v_cndmask_b32_e64 v48, 0x7f800000, v102, s0
	v_cmp_nlt_f32_e64 s0, 0x42b17218, v89
	v_ldexp_f32 v108, v108, v137
	v_add_f32_e32 v50, v55, v50
	v_fmac_f32_e32 v140, 0x32a5705f, v96
	s_delay_alu instid0(VALU_DEP_4) | instskip(SKIP_1) | instid1(VALU_DEP_4)
	v_cndmask_b32_e64 v49, 0x7f800000, v103, s0
	v_cmp_ngt_f32_e64 s0, 0xc2ce8ed0, v94
	v_add_f32_e32 v51, v50, v51
	s_delay_alu instid0(VALU_DEP_3) | instskip(NEXT) | instid1(VALU_DEP_3)
	v_pk_fma_f32 v[26:27], v[26:27], v[48:49], v[30:31]
	v_cndmask_b32_e64 v65, 0, v108, s0
	v_cmp_nlt_f32_e64 s0, 0x42b17218, v90
	v_pk_mul_f32 v[30:31], v[80:81], v[56:57] op_sel_hi:[0,1]
	s_delay_alu instid0(VALU_DEP_4) | instskip(NEXT) | instid1(VALU_DEP_3)
	v_pk_mul_f32 v[48:49], v[70:71], v[26:27]
	v_cndmask_b32_e64 v52, 0x7f800000, v104, s0
	v_cmp_nlt_f32_e64 s0, 0x42b17218, v91
	s_delay_alu instid0(VALU_DEP_1) | instskip(SKIP_2) | instid1(VALU_DEP_3)
	v_cndmask_b32_e64 v53, 0x7f800000, v105, s0
	v_cmp_ngt_f32_e64 s0, 0xc2ce8ed0, v95
	v_add_f32_e32 v110, v110, v140
	v_pk_fma_f32 v[22:23], v[22:23], v[52:53], v[30:31]
	s_delay_alu instid0(VALU_DEP_3) | instskip(SKIP_1) | instid1(VALU_DEP_4)
	v_cndmask_b32_e64 v55, 0, v109, s0
	v_cmp_nlt_f32_e64 s0, 0x42b17218, v92
	v_exp_f32_e32 v110, v110
	v_pk_mul_f32 v[30:31], v[80:81], v[58:59] op_sel_hi:[0,1]
	s_wait_dscnt 0x1
	v_pk_mul_f32 v[52:53], v[72:73], v[22:23]
	v_cndmask_b32_e64 v50, 0x7f800000, v37, s0
	v_cmp_nlt_f32_e64 s0, 0x42b17218, v93
	v_add_f32_e32 v37, v51, v48
	v_ldexp_f32 v110, v110, v141
	s_delay_alu instid0(VALU_DEP_3) | instskip(SKIP_1) | instid1(VALU_DEP_4)
	v_cndmask_b32_e64 v51, 0x7f800000, v64, s0
	v_cmp_ngt_f32_e64 s0, 0xc2ce8ed0, v96
	v_add_f32_e32 v37, v37, v49
	s_delay_alu instid0(VALU_DEP_3) | instskip(NEXT) | instid1(VALU_DEP_3)
	v_pk_fma_f32 v[24:25], v[24:25], v[50:51], v[30:31]
	v_cndmask_b32_e64 v56, 0, v110, s0
	v_cmp_nlt_f32_e64 s0, 0x42b17218, v94
	v_pk_mul_f32 v[30:31], v[80:81], v[60:61] op_sel_hi:[0,1]
	s_delay_alu instid0(VALU_DEP_4) | instskip(NEXT) | instid1(VALU_DEP_3)
	v_pk_mul_f32 v[50:51], v[74:75], v[24:25]
	v_cndmask_b32_e64 v48, 0x7f800000, v65, s0
	v_cmp_nlt_f32_e64 s0, 0x42b17218, v95
	s_delay_alu instid0(VALU_DEP_1) | instskip(SKIP_2) | instid1(VALU_DEP_3)
	v_cndmask_b32_e64 v49, 0x7f800000, v55, s0
	v_cmp_ngt_f32_e64 s0, 0xc2ce8ed0, v97
	v_add_f32_e32 v37, v37, v52
	v_pk_fma_f32 v[18:19], v[18:19], v[48:49], v[30:31]
	v_pk_mul_f32 v[30:31], v[80:81], v[62:63] op_sel_hi:[0,1]
	s_delay_alu instid0(VALU_DEP_3) | instskip(SKIP_1) | instid1(VALU_DEP_1)
	v_dual_add_f32 v37, v37, v53 :: v_dual_cndmask_b32 v53, 0, v111, s0
	v_cmp_nlt_f32_e64 s0, 0x42b17218, v96
	v_cndmask_b32_e64 v52, 0x7f800000, v56, s0
	v_cmp_nlt_f32_e64 s0, 0x42b17218, v97
	s_wait_dscnt 0x0
	v_pk_mul_f32 v[56:57], v[76:77], v[18:19]
	v_add_f32_e32 v37, v37, v50
	s_delay_alu instid0(VALU_DEP_3) | instskip(SKIP_1) | instid1(VALU_DEP_1)
	v_cndmask_b32_e64 v53, 0x7f800000, v53, s0
	s_ashr_i64 s[0:1], s[14:15], 29
	v_pk_fma_f32 v[48:49], v[20:21], v[52:53], v[30:31]
	s_delay_alu instid0(VALU_DEP_1) | instskip(SKIP_1) | instid1(VALU_DEP_1)
	v_pk_mul_f32 v[20:21], v[78:79], v[48:49]
	v_add_f32_e32 v37, v37, v51
	v_add_f32_e32 v30, v37, v56
	s_delay_alu instid0(VALU_DEP_1) | instskip(NEXT) | instid1(VALU_DEP_1)
	v_add_f32_e32 v30, v30, v57
	v_add_f32_e32 v20, v30, v20
	v_add_nc_u64_e32 v[30:31], s[0:1], v[0:1]
	s_delay_alu instid0(VALU_DEP_2)
	v_add_f32_e32 v20, v20, v21
	global_store_b32 v[30:31], v20, off
	s_wait_storecnt 0x0
	s_barrier_signal -1
	s_barrier_wait -1
	s_wait_xcnt 0x0
	s_and_saveexec_b32 s0, vcc_lo
	s_cbranch_execz .LBB7_14
; %bb.13:
	v_mad_nc_i64_i32 v[20:21], s8, 12, v[40:41]
	v_mad_nc_i64_i32 v[30:31], s2, 12, v[38:39]
	global_load_b32 v37, v[20:21], off
	global_load_b32 v50, v[30:31], off
	s_wait_loadcnt 0x1
	ds_store_b32 v36, v37
	s_wait_loadcnt 0x0
	ds_store_b32 v54, v50
.LBB7_14:
	s_or_b32 exec_lo, exec_lo, s0
	v_add_nc_u64_e32 v[50:51], s[16:17], v[28:29]
	s_wait_dscnt 0x0
	s_barrier_signal -1
	s_barrier_wait -1
	s_bfe_i64 s[6:7], s[6:7], 0x200000
	s_mov_b32 s1, exec_lo
	global_load_b32 v20, v[50:51], off
	s_wait_loadcnt 0x0
	v_cmpx_ge_f32_e32 0x41a00000, v20
	s_cbranch_execz .LBB7_16
; %bb.15:
	v_mul_f32_e32 v21, 0x3fb8aa3b, v20
	v_cmp_ngt_f32_e64 s0, 0xc2ce8ed0, v20
	s_delay_alu instid0(VALU_DEP_2) | instskip(SKIP_1) | instid1(VALU_DEP_2)
	v_rndne_f32_e32 v28, v21
	v_fma_f32 v29, 0x3fb8aa3b, v20, -v21
	v_sub_f32_e32 v21, v21, v28
	s_delay_alu instid0(VALU_DEP_2) | instskip(SKIP_1) | instid1(VALU_DEP_2)
	v_fmamk_f32 v29, v20, 0x32a5705f, v29
	v_cvt_i32_f32_e32 v28, v28
	v_add_f32_e32 v21, v21, v29
	s_delay_alu instid0(VALU_DEP_1) | instskip(SKIP_1) | instid1(TRANS32_DEP_1)
	v_exp_f32_e32 v21, v21
	v_nop
	v_ldexp_f32 v21, v21, v28
	s_delay_alu instid0(VALU_DEP_1) | instskip(SKIP_1) | instid1(VALU_DEP_1)
	v_cndmask_b32_e64 v21, 0, v21, s0
	v_cmp_nlt_f32_e64 s0, 0x42b17218, v20
	v_cndmask_b32_e64 v55, 0x7f800000, v21, s0
	s_delay_alu instid0(VALU_DEP_1) | instskip(NEXT) | instid1(VALU_DEP_1)
	v_add_f32_e32 v28, 1.0, v55
	v_cvt_f64_f32_e32 v[20:21], v28
	s_delay_alu instid0(VALU_DEP_1) | instskip(SKIP_1) | instid1(VALU_DEP_1)
	v_frexp_exp_i32_f64_e32 v20, v[20:21]
	v_frexp_mant_f32_e32 v21, v28
	v_cmp_gt_f32_e64 s0, 0x3f2aaaab, v21
	s_delay_alu instid0(VALU_DEP_1) | instskip(SKIP_2) | instid1(VALU_DEP_1)
	v_subrev_co_ci_u32_e64 v37, null, 0, v20, s0
	v_add_f32_e32 v20, -1.0, v28
	s_mov_b32 s0, 0x3e9b6dac
	v_dual_sub_nc_u32 v21, 0, v37 :: v_dual_sub_f32 v29, v20, v28
	v_sub_f32_e32 v20, v55, v20
	s_delay_alu instid0(VALU_DEP_2) | instskip(NEXT) | instid1(VALU_DEP_1)
	v_ldexp_f32 v28, v28, v21
	v_dual_add_f32 v29, 1.0, v29 :: v_dual_add_f32 v31, -1.0, v28
	s_delay_alu instid0(VALU_DEP_1) | instskip(NEXT) | instid1(VALU_DEP_1)
	v_dual_add_f32 v30, 1.0, v28 :: v_dual_add_f32 v20, v20, v29
	v_add_f32_e32 v29, -1.0, v30
	s_delay_alu instid0(VALU_DEP_2) | instskip(NEXT) | instid1(VALU_DEP_2)
	v_ldexp_f32 v20, v20, v21
	v_dual_sub_f32 v21, v28, v29 :: v_dual_add_f32 v29, 1.0, v31
	s_delay_alu instid0(VALU_DEP_1) | instskip(NEXT) | instid1(VALU_DEP_2)
	v_add_f32_e32 v52, v20, v21
	v_sub_f32_e32 v21, v28, v29
	s_delay_alu instid0(VALU_DEP_1) | instskip(NEXT) | instid1(VALU_DEP_1)
	v_dual_add_f32 v56, v20, v21 :: v_dual_add_f32 v53, v30, v52
	v_dual_add_f32 v21, v31, v56 :: v_dual_sub_f32 v20, v30, v53
	v_rcp_f32_e32 v57, v53
	s_delay_alu instid0(VALU_DEP_1) | instskip(NEXT) | instid1(TRANS32_DEP_1)
	v_dual_sub_f32 v59, v31, v21 :: v_dual_add_f32 v52, v52, v20
	v_mul_f32_e32 v58, v21, v57
	s_delay_alu instid0(VALU_DEP_1) | instskip(NEXT) | instid1(VALU_DEP_1)
	v_mul_f32_e32 v28, v53, v58
	v_fma_f32 v30, v58, v53, -v28
	s_delay_alu instid0(VALU_DEP_1) | instskip(NEXT) | instid1(VALU_DEP_1)
	v_fmac_f32_e32 v30, v58, v52
	v_add_f32_e32 v20, v28, v30
	s_delay_alu instid0(VALU_DEP_1) | instskip(NEXT) | instid1(VALU_DEP_1)
	v_dual_sub_f32 v29, v21, v20 :: v_dual_mov_b32 v31, v20
	v_pk_add_f32 v[20:21], v[20:21], v[28:29] neg_lo:[0,1] neg_hi:[0,1]
	v_add_f32_e32 v28, v56, v59
	s_delay_alu instid0(VALU_DEP_2) | instskip(NEXT) | instid1(VALU_DEP_1)
	v_pk_add_f32 v[20:21], v[20:21], v[30:31] neg_lo:[0,1] neg_hi:[0,1]
	v_add_f32_e32 v21, v28, v21
	s_delay_alu instid0(VALU_DEP_1) | instskip(NEXT) | instid1(VALU_DEP_1)
	v_add_f32_e32 v56, v20, v21
	v_add_f32_e32 v21, v29, v56
	s_delay_alu instid0(VALU_DEP_1) | instskip(NEXT) | instid1(VALU_DEP_1)
	v_mul_f32_e32 v59, v57, v21
	v_mul_f32_e32 v30, v53, v59
	s_delay_alu instid0(VALU_DEP_1) | instskip(NEXT) | instid1(VALU_DEP_1)
	v_fma_f32 v28, v59, v53, -v30
	v_fmac_f32_e32 v28, v59, v52
	s_delay_alu instid0(VALU_DEP_1) | instskip(NEXT) | instid1(VALU_DEP_1)
	v_dual_add_f32 v20, v30, v28 :: v_dual_sub_f32 v52, v29, v21
	v_dual_mov_b32 v29, v20 :: v_dual_sub_f32 v31, v21, v20
	s_delay_alu instid0(VALU_DEP_1) | instskip(NEXT) | instid1(VALU_DEP_3)
	v_pk_add_f32 v[20:21], v[20:21], v[30:31] neg_lo:[0,1] neg_hi:[0,1]
	v_add_f32_e32 v30, v56, v52
	s_delay_alu instid0(VALU_DEP_2) | instskip(SKIP_1) | instid1(VALU_DEP_2)
	v_pk_add_f32 v[20:21], v[20:21], v[28:29] neg_lo:[0,1] neg_hi:[0,1]
	v_cvt_f32_i32_e32 v28, v37
	v_add_f32_e32 v21, v30, v21
	s_delay_alu instid0(VALU_DEP_1) | instskip(NEXT) | instid1(VALU_DEP_1)
	v_dual_add_f32 v30, v58, v59 :: v_dual_add_f32 v20, v20, v21
	v_dual_add_f32 v20, v31, v20 :: v_dual_sub_f32 v21, v30, v58
	s_delay_alu instid0(VALU_DEP_1) | instskip(NEXT) | instid1(VALU_DEP_1)
	v_dual_mul_f32 v20, v57, v20 :: v_dual_sub_f32 v21, v59, v21
	v_add_f32_e32 v52, v21, v20
	s_delay_alu instid0(VALU_DEP_1) | instskip(NEXT) | instid1(VALU_DEP_1)
	v_dual_mov_b32 v20, 0x3f317218 :: v_dual_add_f32 v31, v30, v52
	v_mul_f32_e32 v21, v31, v31
	s_delay_alu instid0(VALU_DEP_1) | instskip(SKIP_2) | instid1(VALU_DEP_3)
	v_fmaak_f32 v53, s0, v21, 0x3ecc95a3
	v_mul_f32_e32 v29, v31, v21
	v_cmp_neq_f32_e64 s0, 0x7f800000, v55
	v_fmaak_f32 v21, v21, v53, 0x3f2aaada
	s_delay_alu instid0(VALU_DEP_1) | instskip(SKIP_1) | instid1(VALU_DEP_2)
	v_pk_mul_f32 v[20:21], v[28:29], v[20:21]
	v_ldexp_f32 v29, v31, 1
	v_fma_f32 v37, 0x3f317218, v28, -v20
	s_delay_alu instid0(VALU_DEP_1) | instskip(NEXT) | instid1(VALU_DEP_1)
	v_dual_fmamk_f32 v28, v28, 0xb102e308, v37 :: v_dual_sub_f32 v37, v31, v30
	v_pk_add_f32 v[30:31], v[20:21], v[28:29]
	s_delay_alu instid0(VALU_DEP_1) | instskip(NEXT) | instid1(VALU_DEP_3)
	v_sub_f32_e32 v29, v31, v29
	v_sub_f32_e32 v37, v52, v37
	v_dual_mov_b32 v52, v20 :: v_dual_mov_b32 v62, v31
	s_delay_alu instid0(VALU_DEP_3) | instskip(NEXT) | instid1(VALU_DEP_3)
	v_sub_f32_e32 v29, v21, v29
	v_ldexp_f32 v37, v37, 1
	v_pk_add_f32 v[20:21], v[30:31], v[20:21] neg_lo:[0,1] neg_hi:[0,1]
	s_delay_alu instid0(VALU_DEP_2) | instskip(NEXT) | instid1(VALU_DEP_1)
	v_dual_add_f32 v53, v37, v29 :: v_dual_mov_b32 v29, v30
	v_pk_add_f32 v[56:57], v[30:31], v[52:53]
	s_delay_alu instid0(VALU_DEP_1) | instskip(NEXT) | instid1(VALU_DEP_1)
	v_mov_b32_e32 v21, v57
	v_pk_add_f32 v[58:59], v[28:29], v[20:21]
	v_mov_b32_e32 v58, v57
	v_pk_add_f32 v[20:21], v[28:29], v[20:21] neg_lo:[0,1] neg_hi:[0,1]
	s_delay_alu instid0(VALU_DEP_3) | instskip(NEXT) | instid1(VALU_DEP_1)
	v_dual_mov_b32 v52, v59 :: v_dual_mov_b32 v21, v59
	v_pk_add_f32 v[60:61], v[52:53], v[30:31] neg_lo:[0,1] neg_hi:[0,1]
	s_delay_alu instid0(VALU_DEP_1) | instskip(SKIP_1) | instid1(VALU_DEP_2)
	v_dual_mov_b32 v63, v60 :: v_dual_mov_b32 v37, v60
	v_dual_mov_b32 v31, v30 :: v_dual_mov_b32 v30, v53
	v_pk_add_f32 v[60:61], v[58:59], v[62:63] neg_lo:[0,1] neg_hi:[0,1]
	s_delay_alu instid0(VALU_DEP_3) | instskip(SKIP_1) | instid1(VALU_DEP_3)
	v_pk_add_f32 v[28:29], v[56:57], v[36:37] neg_lo:[0,1] neg_hi:[0,1]
	v_mov_b32_e32 v28, v20
	v_pk_add_f32 v[30:31], v[30:31], v[60:61] neg_lo:[0,1] neg_hi:[0,1]
	s_delay_alu instid0(VALU_DEP_1) | instskip(NEXT) | instid1(VALU_DEP_1)
	v_pk_add_f32 v[28:29], v[28:29], v[30:31]
	v_mov_b32_e32 v56, v29
	s_delay_alu instid0(VALU_DEP_1) | instskip(NEXT) | instid1(VALU_DEP_1)
	v_pk_add_f32 v[56:57], v[28:29], v[56:57]
	v_pk_add_f32 v[52:53], v[52:53], v[56:57]
	s_delay_alu instid0(VALU_DEP_1) | instskip(NEXT) | instid1(VALU_DEP_1)
	v_dual_mov_b32 v31, v56 :: v_dual_mov_b32 v29, v52
	v_pk_add_f32 v[58:59], v[28:29], v[20:21] neg_lo:[0,1] neg_hi:[0,1]
	s_delay_alu instid0(VALU_DEP_1) | instskip(NEXT) | instid1(VALU_DEP_2)
	v_sub_f32_e32 v21, v28, v58
	v_pk_add_f32 v[28:29], v[30:31], v[58:59] neg_lo:[0,1] neg_hi:[0,1]
	s_delay_alu instid0(VALU_DEP_2) | instskip(NEXT) | instid1(VALU_DEP_1)
	v_sub_f32_e32 v20, v20, v21
	v_add_f32_e32 v20, v28, v20
	s_delay_alu instid0(VALU_DEP_1) | instskip(NEXT) | instid1(VALU_DEP_1)
	v_add_f32_e32 v20, v20, v29
	v_add_f32_e32 v20, v52, v20
	s_delay_alu instid0(VALU_DEP_1) | instskip(SKIP_1) | instid1(VALU_DEP_1)
	v_cndmask_b32_e64 v20, 0x7f800000, v20, s0
	v_cmp_gt_f32_e64 s0, 0x33800000, v55
	v_cndmask_b32_e64 v20, v20, v55, s0
.LBB7_16:
	s_or_b32 exec_lo, exec_lo, s1
	v_add_nc_u64_e32 v[52:53], s[12:13], v[44:45]
	s_delay_alu instid0(VALU_DEP_2)
	v_dual_mul_f32 v37, v20, v14 :: v_dual_mov_b32 v44, 0
	v_dual_mul_f32 v45, v20, v15 :: v_dual_mul_f32 v55, v20, v16
	v_dual_mul_f32 v87, v20, v11 :: v_dual_mul_f32 v88, v20, v12
	global_load_b32 v21, v[52:53], off
	v_dual_mul_f32 v91, v20, v7 :: v_dual_mul_f32 v92, v20, v8
	v_dual_mul_f32 v85, v20, v17 :: v_dual_mul_f32 v86, v20, v10
	;; [unrolled: 1-line block ×8, first 2 shown]
	ds_load_b128 v[28:31], v44
	ds_load_b128 v[56:59], v44 offset:16
	ds_load_b128 v[60:63], v44 offset:32
	;; [unrolled: 1-line block ×5, first 2 shown]
	v_dual_mul_f32 v104, 0x3fb8aa3b, v89 :: v_dual_mul_f32 v105, 0x3fb8aa3b, v90
	v_dual_mul_f32 v110, 0x3fb8aa3b, v95 :: v_dual_mul_f32 v111, 0x3fb8aa3b, v97
	ds_load_b128 v[76:79], v44 offset:96
	ds_load_b128 v[80:83], v44 offset:112
	v_fma_f32 v112, 0x3fb8aa3b, v37, -v84
	v_rndne_f32_e32 v113, v84
	v_rndne_f32_e32 v117, v99
	v_mul_f32_e32 v44, 0x3fb8aa3b, v96
	v_fma_f32 v122, 0x3fb8aa3b, v87, -v102
	v_fma_f32 v132, 0x3fb8aa3b, v92, -v107
	v_rndne_f32_e32 v133, v107
	v_rndne_f32_e32 v115, v98
	v_fma_f32 v116, 0x3fb8aa3b, v55, -v99
	v_fma_f32 v120, 0x3fb8aa3b, v86, -v101
	;; [unrolled: 1-line block ×3, first 2 shown]
	v_rndne_f32_e32 v129, v105
	v_fma_f32 v130, 0x3fb8aa3b, v91, -v106
	v_rndne_f32_e32 v131, v106
	v_rndne_f32_e32 v139, v110
	;; [unrolled: 1-line block ×3, first 2 shown]
	v_fmac_f32_e32 v112, 0x32a5705f, v37
	v_sub_f32_e32 v84, v84, v113
	v_sub_f32_e32 v99, v99, v117
	v_fma_f32 v140, 0x3fb8aa3b, v96, -v44
	v_rndne_f32_e32 v141, v44
	v_dual_fmac_f32 v122, 0x32a5705f, v87 :: v_dual_sub_f32 v107, v107, v133
	v_fmac_f32_e32 v132, 0x32a5705f, v92
	v_dual_mul_f32 v100, 0x3fb8aa3b, v85 :: v_dual_mul_f32 v103, 0x3fb8aa3b, v88
	v_fma_f32 v114, 0x3fb8aa3b, v45, -v98
	v_rndne_f32_e32 v121, v101
	v_fma_f32 v138, 0x3fb8aa3b, v95, -v110
	v_fma_f32 v142, 0x3fb8aa3b, v97, -v111
	v_sub_f32_e32 v98, v98, v115
	v_dual_fmac_f32 v120, 0x32a5705f, v86 :: v_dual_sub_f32 v105, v105, v129
	v_dual_fmac_f32 v128, 0x32a5705f, v90 :: v_dual_add_f32 v107, v107, v132
	v_fmac_f32_e32 v130, 0x32a5705f, v91
	v_dual_sub_f32 v106, v106, v131 :: v_dual_sub_f32 v44, v44, v141
	v_dual_fmac_f32 v140, 0x32a5705f, v96 :: v_dual_sub_f32 v111, v111, v143
	v_dual_sub_f32 v110, v110, v139 :: v_dual_add_f32 v84, v84, v112
	v_fma_f32 v118, 0x3fb8aa3b, v85, -v100
	v_rndne_f32_e32 v119, v100
	v_rndne_f32_e32 v127, v104
	v_dual_fmac_f32 v116, 0x32a5705f, v55 :: v_dual_sub_f32 v101, v101, v121
	v_dual_fmac_f32 v114, 0x32a5705f, v45 :: v_dual_add_f32 v105, v105, v128
	v_dual_add_f32 v106, v106, v130 :: v_dual_add_f32 v44, v44, v140
	v_exp_f32_e32 v84, v84
	v_rndne_f32_e32 v125, v103
	v_fma_f32 v126, 0x3fb8aa3b, v89, -v104
	v_dual_fmac_f32 v118, 0x32a5705f, v85 :: v_dual_add_f32 v101, v101, v120
	v_sub_f32_e32 v100, v100, v119
	v_cvt_i32_f32_e32 v113, v113
	v_dual_add_f32 v99, v99, v116 :: v_dual_sub_f32 v104, v104, v127
	v_add_f32_e32 v98, v98, v114
	v_exp_f32_e32 v44, v44
	v_dual_mul_f32 v93, v20, v9 :: v_dual_mul_f32 v94, v20, v2
	v_fma_f32 v124, 0x3fb8aa3b, v88, -v103
	v_sub_f32_e32 v103, v103, v125
	v_cvt_i32_f32_e32 v141, v141
	v_exp_f32_e32 v98, v98
	v_ldexp_f32 v84, v84, v113
	v_cmp_ngt_f32_e64 s0, 0xc2ce8ed0, v37
	v_add_f32_e32 v100, v100, v118
	v_cvt_i32_f32_e32 v115, v115
	v_dual_mul_f32 v108, 0x3fb8aa3b, v93 :: v_dual_mul_f32 v109, 0x3fb8aa3b, v94
	v_rndne_f32_e32 v123, v102
	v_exp_f32_e32 v99, v99
	v_ldexp_f32 v112, v44, v141
	v_cndmask_b32_e64 v44, 0, v84, s0
	v_exp_f32_e32 v100, v100
	v_cvt_i32_f32_e32 v117, v117
	v_cvt_i32_f32_e32 v119, v119
	v_fmac_f32_e32 v142, 0x32a5705f, v97
	v_ldexp_f32 v98, v98, v115
	v_cmp_ngt_f32_e64 s0, 0xc2ce8ed0, v45
	v_rndne_f32_e32 v135, v108
	v_rndne_f32_e32 v137, v109
	v_sub_f32_e32 v102, v102, v123
	v_dual_fmac_f32 v124, 0x32a5705f, v88 :: v_dual_add_f32 v111, v111, v142
	v_fmac_f32_e32 v126, 0x32a5705f, v89
	v_ldexp_f32 v99, v99, v117
	v_ldexp_f32 v100, v100, v119
	v_cndmask_b32_e64 v98, 0, v98, s0
	v_cmp_ngt_f32_e64 s0, 0xc2ce8ed0, v55
	v_fma_f32 v134, 0x3fb8aa3b, v93, -v108
	v_fma_f32 v136, 0x3fb8aa3b, v94, -v109
	v_dual_sub_f32 v109, v109, v137 :: v_dual_sub_f32 v108, v108, v135
	v_add_f32_e32 v102, v102, v122
	v_exp_f32_e32 v101, v101
	v_cvt_i32_f32_e32 v121, v121
	v_dual_add_f32 v103, v103, v124 :: v_dual_add_f32 v104, v104, v126
	v_cndmask_b32_e64 v99, 0, v99, s0
	v_cmp_ngt_f32_e64 s0, 0xc2ce8ed0, v85
	v_exp_f32_e32 v102, v102
	v_cvt_i32_f32_e32 v123, v123
	v_ldexp_f32 v101, v101, v121
	v_exp_f32_e32 v103, v103
	v_cndmask_b32_e64 v100, 0, v100, s0
	v_cmp_ngt_f32_e64 s0, 0xc2ce8ed0, v86
	v_cvt_i32_f32_e32 v125, v125
	v_ldexp_f32 v102, v102, v123
	v_exp_f32_e32 v104, v104
	v_cvt_i32_f32_e32 v127, v127
	v_cndmask_b32_e64 v101, 0, v101, s0
	v_cmp_ngt_f32_e64 s0, 0xc2ce8ed0, v87
	v_ldexp_f32 v103, v103, v125
	v_exp_f32_e32 v105, v105
	v_cvt_i32_f32_e32 v129, v129
	v_ldexp_f32 v104, v104, v127
	v_cndmask_b32_e64 v102, 0, v102, s0
	v_cmp_ngt_f32_e64 s0, 0xc2ce8ed0, v88
	v_exp_f32_e32 v106, v106
	v_cvt_i32_f32_e32 v131, v131
	v_ldexp_f32 v105, v105, v129
	v_exp_f32_e32 v107, v107
	v_cndmask_b32_e64 v103, 0, v103, s0
	v_cmp_ngt_f32_e64 s0, 0xc2ce8ed0, v89
	v_cvt_i32_f32_e32 v133, v133
	v_ldexp_f32 v106, v106, v131
	v_cvt_i32_f32_e32 v137, v137
	v_cvt_i32_f32_e32 v135, v135
	v_cndmask_b32_e64 v104, 0, v104, s0
	v_cmp_ngt_f32_e64 s0, 0xc2ce8ed0, v90
	v_ldexp_f32 v107, v107, v133
	v_cvt_i32_f32_e32 v139, v139
	v_exp_f32_e32 v111, v111
	v_cvt_i32_f32_e32 v143, v143
	v_cndmask_b32_e64 v105, 0, v105, s0
	v_cmp_ngt_f32_e64 s0, 0xc2ce8ed0, v91
	s_delay_alu instid0(TRANS32_DEP_1) | instid1(VALU_DEP_3)
	v_ldexp_f32 v111, v111, v143
	s_delay_alu instid0(VALU_DEP_2) | instskip(SKIP_3) | instid1(VALU_DEP_2)
	v_cndmask_b32_e64 v106, 0, v106, s0
	v_cmp_nlt_f32_e64 s0, 0x42b17218, v37
	s_wait_loadcnt 0x0
	v_mul_f32_e32 v84, v20, v21
	v_cndmask_b32_e64 v20, 0x7f800000, v44, s0
	v_cmp_nlt_f32_e64 s0, 0x42b17218, v45
	s_delay_alu instid0(VALU_DEP_1) | instskip(SKIP_1) | instid1(VALU_DEP_1)
	v_cndmask_b32_e64 v21, 0x7f800000, v98, s0
	v_cmp_ngt_f32_e64 s0, 0xc2ce8ed0, v92
	v_cndmask_b32_e64 v37, 0, v107, s0
	s_wait_dscnt 0x7
	v_pk_mul_f32 v[28:29], v[84:85], v[28:29] op_sel_hi:[0,1]
	v_cmp_nlt_f32_e64 s0, 0x42b17218, v55
	v_pk_mul_f32 v[30:31], v[84:85], v[30:31] op_sel_hi:[0,1]
	s_delay_alu instid0(VALU_DEP_3) | instskip(NEXT) | instid1(VALU_DEP_3)
	v_pk_fma_f32 v[28:29], v[42:43], v[20:21], v[28:29]
	v_cndmask_b32_e64 v44, 0x7f800000, v99, s0
	v_cmp_nlt_f32_e64 s0, 0x42b17218, v85
	s_wait_dscnt 0x6
	v_pk_mul_f32 v[42:43], v[84:85], v[56:57] op_sel_hi:[0,1]
	s_wait_dscnt 0x3
	v_fma_f32 v55, v68, v28, 0
	v_cndmask_b32_e64 v45, 0x7f800000, v100, s0
	v_cmp_nlt_f32_e64 s0, 0x42b17218, v86
	s_delay_alu instid0(VALU_DEP_3) | instskip(NEXT) | instid1(VALU_DEP_3)
	v_fmac_f32_e32 v55, v69, v29
	v_pk_fma_f32 v[30:31], v[32:33], v[44:45], v[30:31]
	v_fmac_f32_e32 v138, 0x32a5705f, v95
	s_delay_alu instid0(VALU_DEP_4) | instskip(SKIP_1) | instid1(VALU_DEP_4)
	v_cndmask_b32_e64 v20, 0x7f800000, v101, s0
	v_cmp_nlt_f32_e64 s0, 0x42b17218, v87
	v_fmac_f32_e32 v55, v70, v30
	v_fmac_f32_e32 v136, 0x32a5705f, v94
	s_delay_alu instid0(VALU_DEP_3) | instskip(SKIP_1) | instid1(VALU_DEP_4)
	v_cndmask_b32_e64 v21, 0x7f800000, v102, s0
	v_cmp_ngt_f32_e64 s0, 0xc2ce8ed0, v93
	v_dual_fmac_f32 v55, v71, v31 :: v_dual_fmac_f32 v134, 0x32a5705f, v93
	s_delay_alu instid0(VALU_DEP_4) | instskip(NEXT) | instid1(VALU_DEP_4)
	v_add_f32_e32 v109, v109, v136
	v_pk_fma_f32 v[32:33], v[46:47], v[20:21], v[42:43]
	v_pk_mul_f32 v[20:21], v[84:85], v[58:59] op_sel_hi:[0,1]
	s_delay_alu instid0(VALU_DEP_3) | instskip(SKIP_1) | instid1(VALU_DEP_2)
	v_exp_f32_e32 v109, v109
	s_wait_dscnt 0x2
	v_pk_mul_f32 v[46:47], v[72:73], v[32:33]
	s_delay_alu instid0(TRANS32_DEP_1) | instskip(SKIP_1) | instid1(VALU_DEP_1)
	v_ldexp_f32 v109, v109, v137
	v_add_f32_e32 v108, v108, v134
	v_exp_f32_e32 v108, v108
	v_nop
	s_delay_alu instid0(TRANS32_DEP_1) | instskip(NEXT) | instid1(VALU_DEP_1)
	v_ldexp_f32 v108, v108, v135
	v_dual_add_f32 v110, v110, v138 :: v_dual_cndmask_b32 v68, 0, v108, s0
	v_cmp_nlt_f32_e64 s0, 0x42b17218, v88
	s_delay_alu instid0(VALU_DEP_2) | instskip(NEXT) | instid1(VALU_DEP_1)
	v_exp_f32_e32 v110, v110
	v_cndmask_b32_e64 v44, 0x7f800000, v103, s0
	v_cmp_nlt_f32_e64 s0, 0x42b17218, v89
	s_delay_alu instid0(TRANS32_DEP_1) | instskip(NEXT) | instid1(VALU_DEP_2)
	v_ldexp_f32 v110, v110, v139
	v_cndmask_b32_e64 v45, 0x7f800000, v104, s0
	v_cmp_ngt_f32_e64 s0, 0xc2ce8ed0, v94
	s_delay_alu instid0(VALU_DEP_2) | instskip(NEXT) | instid1(VALU_DEP_2)
	v_pk_fma_f32 v[42:43], v[26:27], v[44:45], v[20:21]
	v_cndmask_b32_e64 v58, 0, v109, s0
	v_cmp_nlt_f32_e64 s0, 0x42b17218, v90
	v_add_f32_e32 v44, v55, v46
	v_pk_mul_f32 v[20:21], v[84:85], v[60:61] op_sel_hi:[0,1]
	v_pk_mul_f32 v[26:27], v[74:75], v[42:43]
	s_delay_alu instid0(VALU_DEP_4) | instskip(SKIP_2) | instid1(VALU_DEP_2)
	v_cndmask_b32_e64 v56, 0x7f800000, v105, s0
	v_cmp_nlt_f32_e64 s0, 0x42b17218, v91
	v_add_f32_e32 v47, v44, v47
	v_cndmask_b32_e64 v57, 0x7f800000, v106, s0
	v_cmp_ngt_f32_e64 s0, 0xc2ce8ed0, v95
	s_delay_alu instid0(VALU_DEP_3) | instskip(NEXT) | instid1(VALU_DEP_3)
	v_add_f32_e32 v26, v47, v26
	v_pk_fma_f32 v[44:45], v[22:23], v[56:57], v[20:21]
	v_pk_mul_f32 v[20:21], v[84:85], v[62:63] op_sel_hi:[0,1]
	s_wait_dscnt 0x1
	s_delay_alu instid0(VALU_DEP_2) | instskip(SKIP_2) | instid1(VALU_DEP_1)
	v_pk_mul_f32 v[22:23], v[76:77], v[44:45]
	v_cndmask_b32_e64 v55, 0, v110, s0
	v_cmp_nlt_f32_e64 s0, 0x42b17218, v92
	v_cndmask_b32_e64 v46, 0x7f800000, v37, s0
	v_cmp_nlt_f32_e64 s0, 0x42b17218, v93
	v_add_f32_e32 v37, v26, v27
	s_delay_alu instid0(VALU_DEP_2) | instskip(SKIP_1) | instid1(VALU_DEP_2)
	v_cndmask_b32_e64 v47, 0x7f800000, v68, s0
	v_cmp_ngt_f32_e64 s0, 0xc2ce8ed0, v96
	v_pk_fma_f32 v[26:27], v[24:25], v[46:47], v[20:21]
	s_delay_alu instid0(VALU_DEP_2) | instskip(SKIP_2) | instid1(VALU_DEP_4)
	v_cndmask_b32_e64 v59, 0, v112, s0
	v_cmp_nlt_f32_e64 s0, 0x42b17218, v94
	v_pk_mul_f32 v[20:21], v[84:85], v[64:65] op_sel_hi:[0,1]
	v_pk_mul_f32 v[24:25], v[78:79], v[26:27]
	v_add_f32_e32 v22, v37, v22
	s_delay_alu instid0(VALU_DEP_4) | instskip(SKIP_1) | instid1(VALU_DEP_3)
	v_cndmask_b32_e64 v56, 0x7f800000, v58, s0
	v_cmp_nlt_f32_e64 s0, 0x42b17218, v95
	v_add_f32_e32 v23, v22, v23
	s_delay_alu instid0(VALU_DEP_2) | instskip(SKIP_1) | instid1(VALU_DEP_3)
	v_cndmask_b32_e64 v57, 0x7f800000, v55, s0
	v_cmp_ngt_f32_e64 s0, 0xc2ce8ed0, v97
	v_add_f32_e32 v24, v23, v24
	s_delay_alu instid0(VALU_DEP_3) | instskip(NEXT) | instid1(VALU_DEP_3)
	v_pk_fma_f32 v[20:21], v[18:19], v[56:57], v[20:21]
	v_cndmask_b32_e64 v37, 0, v111, s0
	v_cmp_nlt_f32_e64 s0, 0x42b17218, v96
	v_pk_mul_f32 v[18:19], v[84:85], v[66:67] op_sel_hi:[0,1]
	s_wait_dscnt 0x0
	v_pk_mul_f32 v[46:47], v[80:81], v[20:21]
	s_delay_alu instid0(VALU_DEP_3) | instskip(SKIP_1) | instid1(VALU_DEP_1)
	v_cndmask_b32_e64 v22, 0x7f800000, v59, s0
	v_cmp_nlt_f32_e64 s0, 0x42b17218, v97
	v_cndmask_b32_e64 v23, 0x7f800000, v37, s0
	s_delay_alu instid0(VALU_DEP_1) | instskip(NEXT) | instid1(VALU_DEP_1)
	v_pk_fma_f32 v[22:23], v[48:49], v[22:23], v[18:19]
	v_pk_mul_f32 v[18:19], v[82:83], v[22:23]
	v_add_f32_e32 v24, v24, v25
	s_delay_alu instid0(VALU_DEP_1) | instskip(NEXT) | instid1(VALU_DEP_1)
	v_add_f32_e32 v24, v24, v46
	v_add_f32_e32 v37, v24, v47
	v_mad_nc_i64_i32 v[24:25], s6, 12, v[0:1]
	s_delay_alu instid0(VALU_DEP_2) | instskip(NEXT) | instid1(VALU_DEP_1)
	v_add_f32_e32 v18, v37, v18
	v_add_f32_e32 v18, v18, v19
	global_store_b32 v[24:25], v18, off
	s_wait_storecnt 0x0
	s_barrier_signal -1
	s_barrier_wait -1
	s_wait_xcnt 0x0
	s_and_saveexec_b32 s0, vcc_lo
	s_cbranch_execz .LBB7_18
; %bb.17:
	v_lshl_add_u64 v[18:19], s[8:9], 4, v[40:41]
	v_lshl_add_u64 v[24:25], s[2:3], 4, v[38:39]
	global_load_b32 v37, v[18:19], off
	global_load_b32 v46, v[24:25], off
	s_wait_loadcnt 0x1
	ds_store_b32 v36, v37
	s_wait_loadcnt 0x0
	ds_store_b32 v54, v46
.LBB7_18:
	s_or_b32 exec_lo, exec_lo, s0
	v_add_nc_u64_e32 v[24:25], s[16:17], v[50:51]
	s_wait_dscnt 0x0
	s_barrier_signal -1
	s_barrier_wait -1
	s_mov_b32 s1, exec_lo
	global_load_b32 v37, v[24:25], off
	s_wait_loadcnt 0x0
	v_cmpx_ge_f32_e32 0x41a00000, v37
	s_cbranch_execz .LBB7_20
; %bb.19:
	v_mul_f32_e32 v18, 0x3fb8aa3b, v37
	v_cmp_ngt_f32_e64 s0, 0xc2ce8ed0, v37
	s_delay_alu instid0(VALU_DEP_2) | instskip(SKIP_1) | instid1(VALU_DEP_2)
	v_rndne_f32_e32 v19, v18
	v_fma_f32 v46, 0x3fb8aa3b, v37, -v18
	v_sub_f32_e32 v18, v18, v19
	s_delay_alu instid0(VALU_DEP_2) | instskip(SKIP_1) | instid1(VALU_DEP_2)
	v_fmamk_f32 v46, v37, 0x32a5705f, v46
	v_cvt_i32_f32_e32 v19, v19
	v_add_f32_e32 v18, v18, v46
	s_delay_alu instid0(VALU_DEP_1) | instskip(SKIP_1) | instid1(TRANS32_DEP_1)
	v_exp_f32_e32 v18, v18
	v_nop
	v_ldexp_f32 v18, v18, v19
	s_delay_alu instid0(VALU_DEP_1) | instskip(SKIP_1) | instid1(VALU_DEP_1)
	v_cndmask_b32_e64 v18, 0, v18, s0
	v_cmp_nlt_f32_e64 s0, 0x42b17218, v37
	v_cndmask_b32_e64 v55, 0x7f800000, v18, s0
	s_delay_alu instid0(VALU_DEP_1) | instskip(NEXT) | instid1(VALU_DEP_1)
	v_add_f32_e32 v37, 1.0, v55
	v_cvt_f64_f32_e32 v[18:19], v37
	s_delay_alu instid0(VALU_DEP_1) | instskip(SKIP_1) | instid1(VALU_DEP_1)
	v_frexp_exp_i32_f64_e32 v18, v[18:19]
	v_frexp_mant_f32_e32 v19, v37
	v_cmp_gt_f32_e64 s0, 0x3f2aaaab, v19
	s_delay_alu instid0(VALU_DEP_1) | instskip(SKIP_2) | instid1(VALU_DEP_1)
	v_subrev_co_ci_u32_e64 v50, null, 0, v18, s0
	v_add_f32_e32 v18, -1.0, v37
	s_mov_b32 s0, 0x3e9b6dac
	v_dual_sub_f32 v46, v18, v37 :: v_dual_sub_nc_u32 v19, 0, v50
	s_delay_alu instid0(VALU_DEP_1) | instskip(NEXT) | instid1(VALU_DEP_1)
	v_ldexp_f32 v37, v37, v19
	v_dual_add_f32 v47, 1.0, v37 :: v_dual_add_f32 v49, -1.0, v37
	v_sub_f32_e32 v18, v55, v18
	s_delay_alu instid0(VALU_DEP_4) | instskip(NEXT) | instid1(VALU_DEP_1)
	v_add_f32_e32 v46, 1.0, v46
	v_dual_add_f32 v18, v18, v46 :: v_dual_add_f32 v46, -1.0, v47
	s_delay_alu instid0(VALU_DEP_1) | instskip(NEXT) | instid1(VALU_DEP_2)
	v_ldexp_f32 v18, v18, v19
	v_dual_sub_f32 v19, v37, v46 :: v_dual_add_f32 v46, 1.0, v49
	s_delay_alu instid0(VALU_DEP_1) | instskip(NEXT) | instid1(VALU_DEP_1)
	v_dual_add_f32 v48, v18, v19 :: v_dual_sub_f32 v19, v37, v46
	v_add_f32_e32 v37, v47, v48
	s_delay_alu instid0(VALU_DEP_1) | instskip(NEXT) | instid1(VALU_DEP_2)
	v_rcp_f32_e32 v56, v37
	v_dual_add_f32 v51, v18, v19 :: v_dual_sub_f32 v18, v47, v37
	s_delay_alu instid0(VALU_DEP_1)
	v_dual_add_f32 v19, v49, v51 :: v_dual_add_f32 v58, v48, v18
	s_delay_alu instid0(TRANS32_DEP_1) | instid1(VALU_DEP_1)
	v_dual_mul_f32 v57, v19, v56 :: v_dual_sub_f32 v59, v49, v19
	s_delay_alu instid0(VALU_DEP_1) | instskip(NEXT) | instid1(VALU_DEP_1)
	v_mul_f32_e32 v46, v37, v57
	v_fma_f32 v48, v57, v37, -v46
	s_delay_alu instid0(VALU_DEP_1) | instskip(NEXT) | instid1(VALU_DEP_1)
	v_fmac_f32_e32 v48, v57, v58
	v_add_f32_e32 v18, v46, v48
	s_delay_alu instid0(VALU_DEP_1) | instskip(NEXT) | instid1(VALU_DEP_1)
	v_dual_sub_f32 v47, v19, v18 :: v_dual_mov_b32 v49, v18
	v_pk_add_f32 v[18:19], v[18:19], v[46:47] neg_lo:[0,1] neg_hi:[0,1]
	v_add_f32_e32 v46, v51, v59
	s_delay_alu instid0(VALU_DEP_2) | instskip(NEXT) | instid1(VALU_DEP_1)
	v_pk_add_f32 v[18:19], v[18:19], v[48:49] neg_lo:[0,1] neg_hi:[0,1]
	v_add_f32_e32 v19, v46, v19
	s_delay_alu instid0(VALU_DEP_1) | instskip(NEXT) | instid1(VALU_DEP_1)
	v_add_f32_e32 v51, v18, v19
	v_add_f32_e32 v19, v47, v51
	s_delay_alu instid0(VALU_DEP_1) | instskip(NEXT) | instid1(VALU_DEP_1)
	v_mul_f32_e32 v59, v56, v19
	v_mul_f32_e32 v48, v37, v59
	s_delay_alu instid0(VALU_DEP_1) | instskip(NEXT) | instid1(VALU_DEP_1)
	v_fma_f32 v46, v59, v37, -v48
	v_fmac_f32_e32 v46, v59, v58
	s_delay_alu instid0(VALU_DEP_1) | instskip(NEXT) | instid1(VALU_DEP_1)
	v_dual_add_f32 v18, v48, v46 :: v_dual_sub_f32 v37, v47, v19
	v_dual_mov_b32 v47, v18 :: v_dual_add_f32 v37, v51, v37
	v_sub_f32_e32 v49, v19, v18
	s_delay_alu instid0(VALU_DEP_1) | instskip(NEXT) | instid1(VALU_DEP_1)
	v_pk_add_f32 v[18:19], v[18:19], v[48:49] neg_lo:[0,1] neg_hi:[0,1]
	v_pk_add_f32 v[18:19], v[18:19], v[46:47] neg_lo:[0,1] neg_hi:[0,1]
	v_cvt_f32_i32_e32 v46, v50
	s_delay_alu instid0(VALU_DEP_2) | instskip(NEXT) | instid1(VALU_DEP_1)
	v_add_f32_e32 v19, v37, v19
	v_add_f32_e32 v18, v18, v19
	s_delay_alu instid0(VALU_DEP_1) | instskip(NEXT) | instid1(VALU_DEP_1)
	v_add_f32_e32 v18, v49, v18
	v_dual_add_f32 v37, v57, v59 :: v_dual_mul_f32 v18, v56, v18
	s_delay_alu instid0(VALU_DEP_1) | instskip(NEXT) | instid1(VALU_DEP_1)
	v_sub_f32_e32 v19, v37, v57
	v_sub_f32_e32 v19, v59, v19
	s_delay_alu instid0(VALU_DEP_1) | instskip(NEXT) | instid1(VALU_DEP_1)
	v_dual_add_f32 v51, v19, v18 :: v_dual_mov_b32 v18, 0x3f317218
	v_add_f32_e32 v48, v37, v51
	s_delay_alu instid0(VALU_DEP_1) | instskip(NEXT) | instid1(VALU_DEP_1)
	v_mul_f32_e32 v19, v48, v48
	v_fmaak_f32 v49, s0, v19, 0x3ecc95a3
	v_mul_f32_e32 v47, v48, v19
	v_cmp_neq_f32_e64 s0, 0x7f800000, v55
	s_delay_alu instid0(VALU_DEP_3) | instskip(NEXT) | instid1(VALU_DEP_1)
	v_fmaak_f32 v19, v19, v49, 0x3f2aaada
	v_pk_mul_f32 v[18:19], v[46:47], v[18:19]
	v_ldexp_f32 v47, v48, 1
	v_sub_f32_e32 v37, v48, v37
	s_delay_alu instid0(VALU_DEP_3) | instskip(SKIP_1) | instid1(VALU_DEP_2)
	v_fma_f32 v49, 0x3f317218, v46, -v18
	v_mov_b32_e32 v50, v18
	v_fmamk_f32 v46, v46, 0xb102e308, v49
	s_delay_alu instid0(VALU_DEP_1) | instskip(NEXT) | instid1(VALU_DEP_1)
	v_pk_add_f32 v[48:49], v[18:19], v[46:47]
	v_dual_sub_f32 v47, v49, v47 :: v_dual_sub_f32 v37, v51, v37
	s_delay_alu instid0(VALU_DEP_1) | instskip(NEXT) | instid1(VALU_DEP_2)
	v_dual_mov_b32 v62, v49 :: v_dual_sub_f32 v47, v19, v47
	v_ldexp_f32 v37, v37, 1
	s_delay_alu instid0(VALU_DEP_4) | instskip(NEXT) | instid1(VALU_DEP_2)
	v_pk_add_f32 v[18:19], v[48:49], v[18:19] neg_lo:[0,1] neg_hi:[0,1]
	v_dual_add_f32 v51, v37, v47 :: v_dual_mov_b32 v47, v48
	s_delay_alu instid0(VALU_DEP_1) | instskip(NEXT) | instid1(VALU_DEP_1)
	v_pk_add_f32 v[56:57], v[48:49], v[50:51]
	v_mov_b32_e32 v19, v57
	s_delay_alu instid0(VALU_DEP_1) | instskip(SKIP_1) | instid1(VALU_DEP_2)
	v_pk_add_f32 v[58:59], v[46:47], v[18:19]
	v_pk_add_f32 v[18:19], v[46:47], v[18:19] neg_lo:[0,1] neg_hi:[0,1]
	v_dual_mov_b32 v50, v59 :: v_dual_mov_b32 v19, v59
	s_delay_alu instid0(VALU_DEP_1) | instskip(SKIP_1) | instid1(VALU_DEP_2)
	v_pk_add_f32 v[60:61], v[50:51], v[48:49] neg_lo:[0,1] neg_hi:[0,1]
	v_dual_mov_b32 v58, v57 :: v_dual_mov_b32 v49, v48
	v_dual_mov_b32 v48, v51 :: v_dual_mov_b32 v63, v60
	v_mov_b32_e32 v37, v60
	s_delay_alu instid0(VALU_DEP_2) | instskip(NEXT) | instid1(VALU_DEP_2)
	v_pk_add_f32 v[60:61], v[58:59], v[62:63] neg_lo:[0,1] neg_hi:[0,1]
	v_pk_add_f32 v[46:47], v[56:57], v[36:37] neg_lo:[0,1] neg_hi:[0,1]
	v_mov_b32_e32 v46, v18
	s_delay_alu instid0(VALU_DEP_3) | instskip(NEXT) | instid1(VALU_DEP_1)
	v_pk_add_f32 v[48:49], v[48:49], v[60:61] neg_lo:[0,1] neg_hi:[0,1]
	v_pk_add_f32 v[46:47], v[46:47], v[48:49]
	s_delay_alu instid0(VALU_DEP_1) | instskip(NEXT) | instid1(VALU_DEP_1)
	v_mov_b32_e32 v56, v47
	v_pk_add_f32 v[56:57], v[46:47], v[56:57]
	s_delay_alu instid0(VALU_DEP_1) | instskip(NEXT) | instid1(VALU_DEP_1)
	v_pk_add_f32 v[50:51], v[50:51], v[56:57]
	v_dual_mov_b32 v49, v56 :: v_dual_mov_b32 v47, v50
	s_delay_alu instid0(VALU_DEP_1) | instskip(NEXT) | instid1(VALU_DEP_1)
	v_pk_add_f32 v[58:59], v[46:47], v[18:19] neg_lo:[0,1] neg_hi:[0,1]
	v_sub_f32_e32 v19, v46, v58
	s_delay_alu instid0(VALU_DEP_2) | instskip(NEXT) | instid1(VALU_DEP_2)
	v_pk_add_f32 v[46:47], v[48:49], v[58:59] neg_lo:[0,1] neg_hi:[0,1]
	v_sub_f32_e32 v18, v18, v19
	s_delay_alu instid0(VALU_DEP_1) | instskip(NEXT) | instid1(VALU_DEP_1)
	v_add_f32_e32 v18, v46, v18
	v_add_f32_e32 v18, v18, v47
	s_delay_alu instid0(VALU_DEP_1) | instskip(NEXT) | instid1(VALU_DEP_1)
	v_add_f32_e32 v18, v50, v18
	v_cndmask_b32_e64 v18, 0x7f800000, v18, s0
	v_cmp_gt_f32_e64 s0, 0x33800000, v55
	s_delay_alu instid0(VALU_DEP_1)
	v_cndmask_b32_e64 v37, v18, v55, s0
.LBB7_20:
	s_or_b32 exec_lo, exec_lo, s1
	v_add_nc_u64_e32 v[18:19], s[12:13], v[52:53]
	s_delay_alu instid0(VALU_DEP_2)
	v_dual_mul_f32 v51, v37, v14 :: v_dual_mov_b32 v52, 0
	v_dual_mul_f32 v53, v37, v15 :: v_dual_mul_f32 v55, v37, v16
	v_dual_mul_f32 v85, v37, v17 :: v_dual_mul_f32 v86, v37, v10
	global_load_b32 v50, v[18:19], off
	v_dual_mul_f32 v91, v37, v7 :: v_dual_mul_f32 v92, v37, v8
	v_dual_mul_f32 v97, v37, v5 :: v_dual_mul_f32 v84, 0x3fb8aa3b, v51
	;; [unrolled: 1-line block ×7, first 2 shown]
	v_fma_f32 v112, 0x3fb8aa3b, v51, -v84
	v_rndne_f32_e32 v113, v84
	v_dual_mul_f32 v87, v37, v11 :: v_dual_mul_f32 v88, v37, v12
	v_dual_mul_f32 v104, 0x3fb8aa3b, v89 :: v_dual_mul_f32 v105, 0x3fb8aa3b, v90
	;; [unrolled: 1-line block ×3, first 2 shown]
	v_fma_f32 v114, 0x3fb8aa3b, v53, -v98
	v_rndne_f32_e32 v115, v98
	v_rndne_f32_e32 v121, v101
	v_rndne_f32_e32 v131, v106
	v_fmac_f32_e32 v112, 0x32a5705f, v51
	s_delay_alu instid0(VALU_DEP_4)
	v_dual_sub_f32 v84, v84, v113 :: v_dual_sub_f32 v98, v98, v115
	v_dual_mul_f32 v102, 0x3fb8aa3b, v87 :: v_dual_mul_f32 v103, 0x3fb8aa3b, v88
	v_fma_f32 v116, 0x3fb8aa3b, v55, -v99
	v_rndne_f32_e32 v117, v99
	v_fma_f32 v120, 0x3fb8aa3b, v86, -v101
	v_rndne_f32_e32 v127, v104
	;; [unrolled: 2-line block ×3, first 2 shown]
	v_fmac_f32_e32 v114, 0x32a5705f, v53
	v_dual_sub_f32 v101, v101, v121 :: v_dual_sub_f32 v106, v106, v131
	v_add_f32_e32 v84, v84, v112
	ds_load_b128 v[46:49], v52
	ds_load_b128 v[56:59], v52 offset:16
	ds_load_b128 v[60:63], v52 offset:32
	;; [unrolled: 1-line block ×7, first 2 shown]
	v_dual_mul_f32 v52, 0x3fb8aa3b, v96 :: v_dual_sub_f32 v99, v99, v117
	v_fma_f32 v118, 0x3fb8aa3b, v85, -v100
	v_rndne_f32_e32 v119, v100
	v_rndne_f32_e32 v125, v103
	v_fma_f32 v126, 0x3fb8aa3b, v89, -v104
	v_fma_f32 v142, 0x3fb8aa3b, v97, -v111
	v_fmac_f32_e32 v116, 0x32a5705f, v55
	v_sub_f32_e32 v111, v111, v143
	v_dual_sub_f32 v104, v104, v127 :: v_dual_add_f32 v98, v98, v114
	v_exp_f32_e32 v84, v84
	v_rndne_f32_e32 v133, v107
	v_cvt_i32_f32_e32 v113, v113
	v_dual_mul_f32 v93, v37, v9 :: v_dual_mul_f32 v94, v37, v2
	v_fma_f32 v124, 0x3fb8aa3b, v88, -v103
	v_rndne_f32_e32 v129, v105
	v_rndne_f32_e32 v139, v110
	v_dual_sub_f32 v100, v100, v119 :: v_dual_sub_f32 v103, v103, v125
	v_dual_fmac_f32 v118, 0x32a5705f, v85 :: v_dual_add_f32 v99, v99, v116
	v_exp_f32_e32 v98, v98
	v_fma_f32 v132, 0x3fb8aa3b, v92, -v107
	v_cvt_i32_f32_e32 v115, v115
	v_dual_fmac_f32 v120, 0x32a5705f, v86 :: v_dual_sub_f32 v107, v107, v133
	v_fmac_f32_e32 v126, 0x32a5705f, v89
	v_ldexp_f32 v84, v84, v113
	v_cmp_ngt_f32_e64 s0, 0xc2ce8ed0, v51
	v_dual_mul_f32 v108, 0x3fb8aa3b, v93 :: v_dual_mul_f32 v109, 0x3fb8aa3b, v94
	v_fma_f32 v122, 0x3fb8aa3b, v87, -v102
	v_rndne_f32_e32 v123, v102
	v_fma_f32 v128, 0x3fb8aa3b, v90, -v105
	v_fma_f32 v138, 0x3fb8aa3b, v95, -v110
	v_dual_sub_f32 v105, v105, v129 :: v_dual_sub_f32 v110, v110, v139
	v_add_f32_e32 v100, v100, v118
	v_exp_f32_e32 v99, v99
	v_cvt_i32_f32_e32 v117, v117
	v_dual_add_f32 v101, v101, v120 :: v_dual_add_f32 v104, v104, v126
	v_cndmask_b32_e64 v84, 0, v84, s0
	v_ldexp_f32 v98, v98, v115
	v_cmp_ngt_f32_e64 s0, 0xc2ce8ed0, v53
	v_rndne_f32_e32 v135, v108
	v_rndne_f32_e32 v137, v109
	v_rndne_f32_e32 v141, v52
	v_fmac_f32_e32 v122, 0x32a5705f, v87
	v_sub_f32_e32 v102, v102, v123
	v_exp_f32_e32 v100, v100
	v_cvt_i32_f32_e32 v119, v119
	v_ldexp_f32 v99, v99, v117
	v_cndmask_b32_e64 v98, 0, v98, s0
	v_cmp_ngt_f32_e64 s0, 0xc2ce8ed0, v55
	v_fma_f32 v134, 0x3fb8aa3b, v93, -v108
	v_fma_f32 v136, 0x3fb8aa3b, v94, -v109
	;; [unrolled: 1-line block ×3, first 2 shown]
	v_sub_f32_e32 v109, v109, v137
	v_sub_f32_e32 v52, v52, v141
	v_dual_sub_f32 v108, v108, v135 :: v_dual_add_f32 v102, v102, v122
	v_fmac_f32_e32 v142, 0x32a5705f, v97
	v_fmac_f32_e32 v124, 0x32a5705f, v88
	v_exp_f32_e32 v101, v101
	v_cvt_i32_f32_e32 v121, v121
	v_ldexp_f32 v100, v100, v119
	v_cndmask_b32_e64 v99, 0, v99, s0
	v_cmp_ngt_f32_e64 s0, 0xc2ce8ed0, v85
	v_add_f32_e32 v111, v111, v142
	v_dual_fmac_f32 v128, 0x32a5705f, v90 :: v_dual_add_f32 v103, v103, v124
	v_exp_f32_e32 v102, v102
	v_cvt_i32_f32_e32 v123, v123
	v_ldexp_f32 v101, v101, v121
	v_cndmask_b32_e64 v100, 0, v100, s0
	v_cmp_ngt_f32_e64 s0, 0xc2ce8ed0, v86
	v_exp_f32_e32 v103, v103
	v_cvt_i32_f32_e32 v125, v125
	v_ldexp_f32 v102, v102, v123
	v_dual_fmac_f32 v130, 0x32a5705f, v91 :: v_dual_add_f32 v105, v105, v128
	v_cndmask_b32_e64 v101, 0, v101, s0
	v_cmp_ngt_f32_e64 s0, 0xc2ce8ed0, v87
	v_exp_f32_e32 v104, v104
	v_cvt_i32_f32_e32 v127, v127
	v_ldexp_f32 v103, v103, v125
	v_fmac_f32_e32 v140, 0x32a5705f, v96
	v_cndmask_b32_e64 v102, 0, v102, s0
	v_cmp_ngt_f32_e64 s0, 0xc2ce8ed0, v88
	v_add_f32_e32 v106, v106, v130
	v_exp_f32_e32 v105, v105
	v_cvt_i32_f32_e32 v129, v129
	v_ldexp_f32 v104, v104, v127
	v_cndmask_b32_e64 v103, 0, v103, s0
	v_cmp_ngt_f32_e64 s0, 0xc2ce8ed0, v89
	v_add_f32_e32 v52, v52, v140
	v_exp_f32_e32 v106, v106
	v_cvt_i32_f32_e32 v131, v131
	v_ldexp_f32 v105, v105, v129
	v_cndmask_b32_e64 v104, 0, v104, s0
	v_cmp_ngt_f32_e64 s0, 0xc2ce8ed0, v90
	v_exp_f32_e32 v52, v52
	v_cvt_i32_f32_e32 v141, v141
	v_ldexp_f32 v106, v106, v131
	v_cvt_i32_f32_e32 v133, v133
	v_cndmask_b32_e64 v105, 0, v105, s0
	v_cmp_ngt_f32_e64 s0, 0xc2ce8ed0, v91
	v_cvt_i32_f32_e32 v135, v135
	v_ldexp_f32 v112, v52, v141
	v_cvt_i32_f32_e32 v137, v137
	v_cvt_i32_f32_e32 v139, v139
	v_cndmask_b32_e64 v106, 0, v106, s0
	v_cmp_nlt_f32_e64 s0, 0x42b17218, v51
	v_exp_f32_e32 v111, v111
	v_cvt_i32_f32_e32 v143, v143
	s_delay_alu instid0(TRANS32_DEP_1) | instid1(VALU_DEP_1)
	v_ldexp_f32 v111, v111, v143
	s_wait_loadcnt 0x0
	v_mul_f32_e32 v52, v37, v50
	v_cndmask_b32_e64 v50, 0x7f800000, v84, s0
	v_cmp_nlt_f32_e64 s0, 0x42b17218, v53
	s_wait_dscnt 0x7
	s_delay_alu instid0(VALU_DEP_3) | instskip(NEXT) | instid1(VALU_DEP_2)
	v_pk_mul_f32 v[46:47], v[52:53], v[46:47] op_sel_hi:[0,1]
	v_cndmask_b32_e64 v51, 0x7f800000, v98, s0
	v_cmp_ngt_f32_e64 s0, 0xc2ce8ed0, v92
	s_delay_alu instid0(VALU_DEP_2) | instskip(SKIP_2) | instid1(VALU_DEP_2)
	v_pk_fma_f32 v[50:51], v[28:29], v[50:51], v[46:47]
	v_pk_mul_f32 v[46:47], v[52:53], v[48:49] op_sel_hi:[0,1]
	s_wait_dscnt 0x3
	v_fma_f32 v53, v68, v50, 0
	v_fmac_f32_e32 v132, 0x32a5705f, v92
	s_delay_alu instid0(VALU_DEP_2) | instskip(SKIP_1) | instid1(VALU_DEP_3)
	v_pk_mul_f32 v[56:57], v[52:53], v[56:57] op_sel_hi:[0,1]
	v_dual_fmac_f32 v53, v69, v51 :: v_dual_fmac_f32 v134, 0x32a5705f, v93
	v_add_f32_e32 v107, v107, v132
	s_delay_alu instid0(VALU_DEP_1) | instskip(SKIP_1) | instid1(TRANS32_DEP_1)
	v_exp_f32_e32 v107, v107
	v_nop
	v_ldexp_f32 v107, v107, v133
	s_delay_alu instid0(VALU_DEP_1) | instskip(SKIP_1) | instid1(VALU_DEP_2)
	v_dual_add_f32 v108, v108, v134 :: v_dual_cndmask_b32 v37, 0, v107, s0
	v_cmp_nlt_f32_e64 s0, 0x42b17218, v55
	v_exp_f32_e32 v108, v108
	s_delay_alu instid0(VALU_DEP_1) | instskip(SKIP_1) | instid1(TRANS32_DEP_1)
	v_cndmask_b32_e64 v84, 0x7f800000, v99, s0
	v_cmp_nlt_f32_e64 s0, 0x42b17218, v85
	v_ldexp_f32 v108, v108, v135
	s_delay_alu instid0(VALU_DEP_2) | instskip(SKIP_1) | instid1(VALU_DEP_2)
	v_cndmask_b32_e64 v85, 0x7f800000, v100, s0
	v_cmp_nlt_f32_e64 s0, 0x42b17218, v86
	v_pk_fma_f32 v[48:49], v[30:31], v[84:85], v[46:47]
	s_delay_alu instid0(VALU_DEP_2) | instskip(SKIP_1) | instid1(VALU_DEP_3)
	v_cndmask_b32_e64 v28, 0x7f800000, v101, s0
	v_cmp_nlt_f32_e64 s0, 0x42b17218, v87
	v_dual_fmac_f32 v136, 0x32a5705f, v94 :: v_dual_fmac_f32 v53, v70, v48
	v_fmac_f32_e32 v138, 0x32a5705f, v95
	s_delay_alu instid0(VALU_DEP_3) | instskip(SKIP_1) | instid1(VALU_DEP_3)
	v_cndmask_b32_e64 v29, 0x7f800000, v102, s0
	v_cmp_ngt_f32_e64 s0, 0xc2ce8ed0, v93
	v_dual_add_f32 v109, v109, v136 :: v_dual_add_f32 v110, v110, v138
	s_delay_alu instid0(VALU_DEP_3) | instskip(NEXT) | instid1(VALU_DEP_3)
	v_pk_fma_f32 v[46:47], v[32:33], v[28:29], v[56:57]
	v_cndmask_b32_e64 v55, 0, v108, s0
	v_cmp_nlt_f32_e64 s0, 0x42b17218, v88
	s_delay_alu instid0(VALU_DEP_4)
	v_exp_f32_e32 v109, v109
	v_exp_f32_e32 v110, v110
	v_pk_mul_f32 v[28:29], v[52:53], v[58:59] op_sel_hi:[0,1]
	s_wait_dscnt 0x2
	v_pk_mul_f32 v[56:57], v[72:73], v[46:47]
	v_cndmask_b32_e64 v30, 0x7f800000, v103, s0
	v_cmp_nlt_f32_e64 s0, 0x42b17218, v89
	v_fmac_f32_e32 v53, v71, v49
	v_ldexp_f32 v109, v109, v137
	v_ldexp_f32 v110, v110, v139
	s_delay_alu instid0(VALU_DEP_4) | instskip(SKIP_1) | instid1(VALU_DEP_2)
	v_cndmask_b32_e64 v31, 0x7f800000, v104, s0
	v_cmp_ngt_f32_e64 s0, 0xc2ce8ed0, v94
	v_pk_fma_f32 v[32:33], v[42:43], v[30:31], v[28:29]
	s_delay_alu instid0(VALU_DEP_2) | instskip(SKIP_1) | instid1(VALU_DEP_3)
	v_cndmask_b32_e64 v68, 0, v109, s0
	v_cmp_nlt_f32_e64 s0, 0x42b17218, v90
	v_pk_mul_f32 v[30:31], v[74:75], v[32:33]
	s_delay_alu instid0(VALU_DEP_2) | instskip(SKIP_1) | instid1(VALU_DEP_1)
	v_cndmask_b32_e64 v58, 0x7f800000, v105, s0
	v_cmp_nlt_f32_e64 s0, 0x42b17218, v91
	v_cndmask_b32_e64 v59, 0x7f800000, v106, s0
	v_cmp_ngt_f32_e64 s0, 0xc2ce8ed0, v95
	v_add_f32_e32 v42, v53, v56
	s_delay_alu instid0(VALU_DEP_1) | instskip(SKIP_1) | instid1(VALU_DEP_4)
	v_add_f32_e32 v43, v42, v57
	v_pk_mul_f32 v[28:29], v[52:53], v[60:61] op_sel_hi:[0,1]
	v_cndmask_b32_e64 v53, 0, v110, s0
	v_cmp_nlt_f32_e64 s0, 0x42b17218, v92
	s_delay_alu instid0(VALU_DEP_4) | instskip(NEXT) | instid1(VALU_DEP_4)
	v_add_f32_e32 v30, v43, v30
	v_pk_fma_f32 v[28:29], v[44:45], v[58:59], v[28:29]
	s_delay_alu instid0(VALU_DEP_4) | instskip(NEXT) | instid1(VALU_DEP_4)
	v_pk_mul_f32 v[44:45], v[52:53], v[62:63] op_sel_hi:[0,1]
	v_cndmask_b32_e64 v42, 0x7f800000, v37, s0
	v_cmp_nlt_f32_e64 s0, 0x42b17218, v93
	s_wait_dscnt 0x1
	v_pk_mul_f32 v[56:57], v[76:77], v[28:29]
	s_delay_alu instid0(VALU_DEP_2) | instskip(SKIP_1) | instid1(VALU_DEP_1)
	v_cndmask_b32_e64 v43, 0x7f800000, v55, s0
	v_cmp_ngt_f32_e64 s0, 0xc2ce8ed0, v96
	v_cndmask_b32_e64 v55, 0, v112, s0
	v_cmp_nlt_f32_e64 s0, 0x42b17218, v94
	v_add_f32_e32 v37, v30, v31
	v_pk_fma_f32 v[30:31], v[26:27], v[42:43], v[44:45]
	v_pk_mul_f32 v[26:27], v[52:53], v[64:65] op_sel_hi:[0,1]
	s_delay_alu instid0(VALU_DEP_4) | instskip(SKIP_1) | instid1(VALU_DEP_4)
	v_cndmask_b32_e64 v58, 0x7f800000, v68, s0
	v_cmp_nlt_f32_e64 s0, 0x42b17218, v95
	v_pk_mul_f32 v[42:43], v[78:79], v[30:31]
	s_delay_alu instid0(VALU_DEP_2) | instskip(SKIP_2) | instid1(VALU_DEP_3)
	v_cndmask_b32_e64 v59, 0x7f800000, v53, s0
	v_cmp_ngt_f32_e64 s0, 0xc2ce8ed0, v97
	v_add_f32_e32 v37, v37, v56
	v_pk_fma_f32 v[26:27], v[20:21], v[58:59], v[26:27]
	s_delay_alu instid0(VALU_DEP_3) | instskip(SKIP_4) | instid1(VALU_DEP_3)
	v_cndmask_b32_e64 v45, 0, v111, s0
	v_cmp_nlt_f32_e64 s0, 0x42b17218, v96
	v_pk_mul_f32 v[20:21], v[52:53], v[66:67] op_sel_hi:[0,1]
	s_wait_dscnt 0x0
	v_pk_mul_f32 v[52:53], v[80:81], v[26:27]
	v_cndmask_b32_e64 v44, 0x7f800000, v55, s0
	v_cmp_nlt_f32_e64 s0, 0x42b17218, v97
	s_delay_alu instid0(VALU_DEP_1) | instskip(SKIP_1) | instid1(VALU_DEP_1)
	v_cndmask_b32_e64 v45, 0x7f800000, v45, s0
	s_ashr_i64 s[0:1], s[14:15], 28
	v_pk_fma_f32 v[20:21], v[22:23], v[44:45], v[20:21]
	s_delay_alu instid0(VALU_DEP_1) | instskip(SKIP_1) | instid1(VALU_DEP_1)
	v_pk_mul_f32 v[22:23], v[82:83], v[20:21]
	v_add_f32_e32 v37, v37, v57
	v_add_f32_e32 v37, v37, v42
	s_delay_alu instid0(VALU_DEP_1) | instskip(SKIP_1) | instid1(VALU_DEP_2)
	v_add_f32_e32 v37, v37, v43
	v_add_nc_u64_e32 v[42:43], s[0:1], v[0:1]
	v_add_f32_e32 v37, v37, v52
	s_delay_alu instid0(VALU_DEP_1) | instskip(NEXT) | instid1(VALU_DEP_1)
	v_add_f32_e32 v37, v37, v53
	v_add_f32_e32 v22, v37, v22
	s_delay_alu instid0(VALU_DEP_1)
	v_add_f32_e32 v22, v22, v23
	global_store_b32 v[42:43], v22, off
	s_wait_storecnt 0x0
	s_barrier_signal -1
	s_barrier_wait -1
	s_wait_xcnt 0x0
	s_and_saveexec_b32 s0, vcc_lo
	s_cbranch_execz .LBB7_22
; %bb.21:
	v_mad_nc_i64_i32 v[22:23], s8, 20, v[40:41]
	v_mad_nc_i64_i32 v[38:39], s2, 20, v[38:39]
	global_load_b32 v37, v[22:23], off
	global_load_b32 v40, v[38:39], off
	s_wait_loadcnt 0x1
	ds_store_b32 v36, v37
	s_wait_loadcnt 0x0
	ds_store_b32 v54, v40
.LBB7_22:
	s_or_b32 exec_lo, exec_lo, s0
	v_add_nc_u64_e32 v[22:23], s[16:17], v[24:25]
	s_wait_dscnt 0x0
	s_barrier_signal -1
	s_barrier_wait -1
	s_mov_b32 s0, exec_lo
	global_load_b32 v22, v[22:23], off
	s_wait_loadcnt 0x0
	v_cmpx_ge_f32_e32 0x41a00000, v22
	s_cbranch_execz .LBB7_24
; %bb.23:
	v_mul_f32_e32 v23, 0x3fb8aa3b, v22
	v_cmp_ngt_f32_e32 vcc_lo, 0xc2ce8ed0, v22
	s_mov_b32 s1, 0x3e9b6dac
	s_delay_alu instid0(VALU_DEP_2) | instskip(SKIP_1) | instid1(VALU_DEP_2)
	v_rndne_f32_e32 v24, v23
	v_fma_f32 v25, 0x3fb8aa3b, v22, -v23
	v_sub_f32_e32 v23, v23, v24
	s_delay_alu instid0(VALU_DEP_2) | instskip(SKIP_1) | instid1(VALU_DEP_2)
	v_fmamk_f32 v25, v22, 0x32a5705f, v25
	v_cvt_i32_f32_e32 v24, v24
	v_add_f32_e32 v23, v23, v25
	s_delay_alu instid0(VALU_DEP_1) | instskip(SKIP_1) | instid1(TRANS32_DEP_1)
	v_exp_f32_e32 v23, v23
	v_nop
	v_ldexp_f32 v23, v23, v24
	s_delay_alu instid0(VALU_DEP_1) | instskip(SKIP_1) | instid1(VALU_DEP_2)
	v_cndmask_b32_e32 v23, 0, v23, vcc_lo
	v_cmp_nlt_f32_e32 vcc_lo, 0x42b17218, v22
	v_cndmask_b32_e32 v54, 0x7f800000, v23, vcc_lo
	s_delay_alu instid0(VALU_DEP_1) | instskip(NEXT) | instid1(VALU_DEP_1)
	v_add_f32_e32 v24, 1.0, v54
	v_cvt_f64_f32_e32 v[22:23], v24
	s_delay_alu instid0(VALU_DEP_1) | instskip(SKIP_1) | instid1(VALU_DEP_1)
	v_frexp_exp_i32_f64_e32 v22, v[22:23]
	v_frexp_mant_f32_e32 v23, v24
	v_cmp_gt_f32_e32 vcc_lo, 0x3f2aaaab, v23
	s_delay_alu instid0(VALU_DEP_3) | instskip(NEXT) | instid1(VALU_DEP_1)
	v_subrev_co_ci_u32_e64 v38, null, 0, v22, vcc_lo
	v_dual_add_f32 v22, -1.0, v24 :: v_dual_sub_nc_u32 v23, 0, v38
	v_cmp_neq_f32_e32 vcc_lo, 0x7f800000, v54
	s_delay_alu instid0(VALU_DEP_2) | instskip(SKIP_1) | instid1(VALU_DEP_4)
	v_sub_f32_e32 v25, v22, v24
	v_sub_f32_e32 v22, v54, v22
	v_ldexp_f32 v24, v24, v23
	s_delay_alu instid0(VALU_DEP_1) | instskip(NEXT) | instid1(VALU_DEP_1)
	v_dual_add_f32 v25, 1.0, v25 :: v_dual_add_f32 v37, -1.0, v24
	v_dual_add_f32 v36, 1.0, v24 :: v_dual_add_f32 v22, v22, v25
	s_delay_alu instid0(VALU_DEP_1) | instskip(NEXT) | instid1(VALU_DEP_2)
	v_add_f32_e32 v25, -1.0, v36
	v_ldexp_f32 v22, v22, v23
	s_delay_alu instid0(VALU_DEP_2) | instskip(NEXT) | instid1(VALU_DEP_1)
	v_sub_f32_e32 v23, v24, v25
	v_dual_add_f32 v25, 1.0, v37 :: v_dual_add_f32 v39, v22, v23
	s_delay_alu instid0(VALU_DEP_1) | instskip(NEXT) | instid1(VALU_DEP_2)
	v_add_f32_e32 v40, v36, v39
	v_sub_f32_e32 v23, v24, v25
	s_delay_alu instid0(VALU_DEP_1) | instskip(NEXT) | instid1(VALU_DEP_1)
	v_add_f32_e32 v41, v22, v23
	v_add_f32_e32 v23, v37, v41
	s_delay_alu instid0(VALU_DEP_4) | instskip(SKIP_1) | instid1(TRANS32_DEP_1)
	v_rcp_f32_e32 v42, v40
	v_nop
	v_dual_sub_f32 v44, v37, v23 :: v_dual_mul_f32 v43, v23, v42
	v_sub_f32_e32 v22, v36, v40
	s_delay_alu instid0(VALU_DEP_1) | instskip(NEXT) | instid1(VALU_DEP_1)
	v_dual_mul_f32 v24, v40, v43 :: v_dual_add_f32 v39, v39, v22
	v_fma_f32 v36, v43, v40, -v24
	s_delay_alu instid0(VALU_DEP_1) | instskip(NEXT) | instid1(VALU_DEP_1)
	v_fmac_f32_e32 v36, v43, v39
	v_add_f32_e32 v22, v24, v36
	s_delay_alu instid0(VALU_DEP_1) | instskip(NEXT) | instid1(VALU_DEP_1)
	v_dual_sub_f32 v25, v23, v22 :: v_dual_mov_b32 v37, v22
	v_pk_add_f32 v[22:23], v[22:23], v[24:25] neg_lo:[0,1] neg_hi:[0,1]
	v_add_f32_e32 v24, v41, v44
	s_delay_alu instid0(VALU_DEP_2) | instskip(NEXT) | instid1(VALU_DEP_1)
	v_pk_add_f32 v[22:23], v[22:23], v[36:37] neg_lo:[0,1] neg_hi:[0,1]
	v_add_f32_e32 v23, v24, v23
	s_delay_alu instid0(VALU_DEP_1) | instskip(NEXT) | instid1(VALU_DEP_1)
	v_add_f32_e32 v41, v22, v23
	v_add_f32_e32 v23, v25, v41
	s_delay_alu instid0(VALU_DEP_1) | instskip(NEXT) | instid1(VALU_DEP_1)
	v_mul_f32_e32 v44, v42, v23
	v_mul_f32_e32 v36, v40, v44
	s_delay_alu instid0(VALU_DEP_1) | instskip(NEXT) | instid1(VALU_DEP_1)
	v_fma_f32 v24, v44, v40, -v36
	v_fmac_f32_e32 v24, v44, v39
	s_delay_alu instid0(VALU_DEP_1) | instskip(NEXT) | instid1(VALU_DEP_1)
	v_dual_sub_f32 v39, v25, v23 :: v_dual_add_f32 v22, v36, v24
	v_dual_sub_f32 v37, v23, v22 :: v_dual_mov_b32 v25, v22
	s_delay_alu instid0(VALU_DEP_1) | instskip(NEXT) | instid1(VALU_DEP_3)
	v_pk_add_f32 v[22:23], v[22:23], v[36:37] neg_lo:[0,1] neg_hi:[0,1]
	v_add_f32_e32 v36, v41, v39
	s_delay_alu instid0(VALU_DEP_2) | instskip(SKIP_1) | instid1(VALU_DEP_2)
	v_pk_add_f32 v[22:23], v[22:23], v[24:25] neg_lo:[0,1] neg_hi:[0,1]
	v_cvt_f32_i32_e32 v24, v38
	v_dual_add_f32 v23, v36, v23 :: v_dual_add_f32 v36, v43, v44
	s_delay_alu instid0(VALU_DEP_1) | instskip(NEXT) | instid1(VALU_DEP_1)
	v_add_f32_e32 v22, v22, v23
	v_dual_sub_f32 v23, v36, v43 :: v_dual_add_f32 v22, v37, v22
	s_delay_alu instid0(VALU_DEP_1) | instskip(NEXT) | instid1(VALU_DEP_1)
	v_dual_sub_f32 v23, v44, v23 :: v_dual_mul_f32 v22, v42, v22
	v_dual_add_f32 v39, v23, v22 :: v_dual_mov_b32 v22, 0x3f317218
	s_delay_alu instid0(VALU_DEP_1) | instskip(NEXT) | instid1(VALU_DEP_1)
	v_add_f32_e32 v37, v36, v39
	v_mul_f32_e32 v23, v37, v37
	s_delay_alu instid0(VALU_DEP_1) | instskip(NEXT) | instid1(VALU_DEP_1)
	v_dual_fmaak_f32 v40, s1, v23, 0x3ecc95a3 :: v_dual_mul_f32 v25, v37, v23
	v_fmaak_f32 v23, v23, v40, 0x3f2aaada
	s_delay_alu instid0(VALU_DEP_1) | instskip(NEXT) | instid1(VALU_DEP_1)
	v_pk_mul_f32 v[22:23], v[24:25], v[22:23]
	v_fma_f32 v38, 0x3f317218, v24, -v22
	s_delay_alu instid0(VALU_DEP_1) | instskip(SKIP_1) | instid1(VALU_DEP_1)
	v_fmamk_f32 v24, v24, 0xb102e308, v38
	v_sub_f32_e32 v38, v37, v36
	v_sub_f32_e32 v38, v39, v38
	v_ldexp_f32 v25, v37, 1
	s_delay_alu instid0(VALU_DEP_2) | instskip(NEXT) | instid1(VALU_DEP_2)
	v_ldexp_f32 v39, v38, 1
	v_pk_add_f32 v[36:37], v[22:23], v[24:25]
	s_delay_alu instid0(VALU_DEP_1) | instskip(NEXT) | instid1(VALU_DEP_1)
	v_dual_mov_b32 v38, v22 :: v_dual_sub_f32 v25, v37, v25
	v_sub_f32_e32 v25, v23, v25
	s_delay_alu instid0(VALU_DEP_3) | instskip(NEXT) | instid1(VALU_DEP_2)
	v_pk_add_f32 v[22:23], v[36:37], v[22:23] neg_lo:[0,1] neg_hi:[0,1]
	v_dual_add_f32 v39, v39, v25 :: v_dual_mov_b32 v25, v36
	s_delay_alu instid0(VALU_DEP_1) | instskip(NEXT) | instid1(VALU_DEP_1)
	v_pk_add_f32 v[40:41], v[36:37], v[38:39]
	v_dual_mov_b32 v52, v37 :: v_dual_mov_b32 v23, v41
	s_delay_alu instid0(VALU_DEP_1) | instskip(NEXT) | instid1(VALU_DEP_1)
	v_pk_add_f32 v[42:43], v[24:25], v[22:23]
	v_dual_mov_b32 v42, v41 :: v_dual_mov_b32 v38, v43
	v_pk_add_f32 v[22:23], v[24:25], v[22:23] neg_lo:[0,1] neg_hi:[0,1]
	s_delay_alu instid0(VALU_DEP_2) | instskip(SKIP_1) | instid1(VALU_DEP_2)
	v_pk_add_f32 v[44:45], v[38:39], v[36:37] neg_lo:[0,1] neg_hi:[0,1]
	v_dual_mov_b32 v37, v36 :: v_dual_mov_b32 v36, v39
	v_dual_mov_b32 v39, v44 :: v_dual_mov_b32 v53, v44
	s_delay_alu instid0(VALU_DEP_1) | instskip(NEXT) | instid1(VALU_DEP_2)
	v_pk_add_f32 v[24:25], v[40:41], v[38:39] neg_lo:[0,1] neg_hi:[0,1]
	v_pk_add_f32 v[44:45], v[42:43], v[52:53] neg_lo:[0,1] neg_hi:[0,1]
	v_mov_b32_e32 v24, v22
	s_delay_alu instid0(VALU_DEP_2) | instskip(NEXT) | instid1(VALU_DEP_1)
	v_pk_add_f32 v[36:37], v[36:37], v[44:45] neg_lo:[0,1] neg_hi:[0,1]
	v_pk_add_f32 v[24:25], v[24:25], v[36:37]
	s_delay_alu instid0(VALU_DEP_1) | instskip(NEXT) | instid1(VALU_DEP_1)
	v_mov_b32_e32 v40, v25
	v_pk_add_f32 v[40:41], v[24:25], v[40:41]
	s_delay_alu instid0(VALU_DEP_1) | instskip(NEXT) | instid1(VALU_DEP_1)
	v_pk_add_f32 v[38:39], v[38:39], v[40:41]
	v_dual_mov_b32 v23, v43 :: v_dual_mov_b32 v25, v38
	s_delay_alu instid0(VALU_DEP_1) | instskip(NEXT) | instid1(VALU_DEP_1)
	v_pk_add_f32 v[42:43], v[24:25], v[22:23] neg_lo:[0,1] neg_hi:[0,1]
	v_sub_f32_e32 v23, v24, v42
	s_delay_alu instid0(VALU_DEP_1) | instskip(NEXT) | instid1(VALU_DEP_1)
	v_dual_mov_b32 v37, v40 :: v_dual_sub_f32 v22, v22, v23
	v_pk_add_f32 v[24:25], v[36:37], v[42:43] neg_lo:[0,1] neg_hi:[0,1]
	s_delay_alu instid0(VALU_DEP_1) | instskip(NEXT) | instid1(VALU_DEP_1)
	v_add_f32_e32 v22, v24, v22
	v_add_f32_e32 v22, v22, v25
	s_delay_alu instid0(VALU_DEP_1) | instskip(NEXT) | instid1(VALU_DEP_1)
	v_add_f32_e32 v22, v38, v22
	v_cndmask_b32_e32 v22, 0x7f800000, v22, vcc_lo
	v_cmp_gt_f32_e32 vcc_lo, 0x33800000, v54
	s_delay_alu instid0(VALU_DEP_2)
	v_cndmask_b32_e32 v22, v22, v54, vcc_lo
.LBB7_24:
	s_or_b32 exec_lo, exec_lo, s0
	v_add_nc_u64_e32 v[18:19], s[12:13], v[18:19]
	s_delay_alu instid0(VALU_DEP_2)
	v_dual_mul_f32 v24, v22, v15 :: v_dual_mul_f32 v44, v22, v16
	v_dual_mul_f32 v45, v22, v17 :: v_dual_mul_f32 v60, v22, v10
	;; [unrolled: 1-line block ×3, first 2 shown]
	global_load_b32 v18, v[18:19], off
	s_wait_xcnt 0x0
	v_dual_mul_f32 v19, v22, v14 :: v_dual_mov_b32 v23, 0
	v_dual_mul_f32 v61, v22, v11 :: v_dual_mul_f32 v62, v22, v12
	v_dual_mul_f32 v65, v22, v7 :: v_dual_mul_f32 v66, v22, v8
	s_delay_alu instid0(VALU_DEP_3)
	v_dual_mul_f32 v25, 0x3fb8aa3b, v19 :: v_dual_mul_f32 v74, 0x3fb8aa3b, v45
	v_dual_mul_f32 v67, v22, v9 :: v_dual_mul_f32 v68, v22, v2
	;; [unrolled: 1-line block ×5, first 2 shown]
	ds_load_b128 v[2:5], v23 offset:64
	ds_load_b128 v[6:9], v23 offset:80
	v_dual_mul_f32 v79, 0x3fb8aa3b, v64 :: v_dual_mul_f32 v82, 0x3fb8aa3b, v67
	ds_load_b128 v[10:13], v23 offset:96
	ds_load_b128 v[14:17], v23 offset:112
	ds_load_b128 v[36:39], v23
	ds_load_b128 v[40:43], v23 offset:16
	ds_load_b128 v[52:55], v23 offset:32
	;; [unrolled: 1-line block ×3, first 2 shown]
	v_fma_f32 v23, 0x3fb8aa3b, v19, -v25
	v_rndne_f32_e32 v87, v25
	v_dual_mul_f32 v75, 0x3fb8aa3b, v60 :: v_dual_mul_f32 v78, 0x3fb8aa3b, v63
	v_fma_f32 v88, 0x3fb8aa3b, v24, -v72
	v_rndne_f32_e32 v89, v72
	v_fma_f32 v90, 0x3fb8aa3b, v44, -v73
	v_fma_f32 v102, 0x3fb8aa3b, v64, -v79
	s_delay_alu instid0(VALU_DEP_4) | instskip(NEXT) | instid1(VALU_DEP_3)
	v_dual_fmac_f32 v23, 0x32a5705f, v19 :: v_dual_fmac_f32 v88, 0x32a5705f, v24
	v_dual_sub_f32 v25, v25, v87 :: v_dual_fmac_f32 v90, 0x32a5705f, v44
	v_dual_mul_f32 v85, 0x3fb8aa3b, v70 :: v_dual_sub_f32 v72, v72, v89
	v_fma_f32 v100, 0x3fb8aa3b, v63, -v78
	s_delay_alu instid0(VALU_DEP_3) | instskip(SKIP_2) | instid1(VALU_DEP_4)
	v_dual_fmac_f32 v102, 0x32a5705f, v64 :: v_dual_add_f32 v23, v25, v23
	v_dual_mul_f32 v77, 0x3fb8aa3b, v62 :: v_dual_mul_f32 v80, 0x3fb8aa3b, v65
	v_rndne_f32_e32 v91, v73
	v_dual_fmac_f32 v100, 0x32a5705f, v63 :: v_dual_add_f32 v25, v72, v88
	s_delay_alu instid0(VALU_DEP_4)
	v_exp_f32_e32 v23, v23
	v_dual_mul_f32 v81, 0x3fb8aa3b, v66 :: v_dual_mul_f32 v84, 0x3fb8aa3b, v69
	v_dual_mul_f32 v83, 0x3fb8aa3b, v68 :: v_dual_mul_f32 v86, 0x3fb8aa3b, v71
	v_cvt_i32_f32_e32 v87, v87
	v_fma_f32 v92, 0x3fb8aa3b, v45, -v74
	v_rndne_f32_e32 v105, v80
	v_sub_f32_e32 v73, v73, v91
	v_exp_f32_e32 v25, v25
	v_rndne_f32_e32 v93, v74
	v_fma_f32 v94, 0x3fb8aa3b, v60, -v75
	v_rndne_f32_e32 v95, v75
	v_fma_f32 v96, 0x3fb8aa3b, v61, -v76
	;; [unrolled: 2-line block ×3, first 2 shown]
	v_rndne_f32_e32 v99, v77
	v_rndne_f32_e32 v101, v78
	;; [unrolled: 1-line block ×3, first 2 shown]
	v_fma_f32 v104, 0x3fb8aa3b, v65, -v80
	v_fma_f32 v106, 0x3fb8aa3b, v66, -v81
	v_rndne_f32_e32 v107, v81
	v_fma_f32 v108, 0x3fb8aa3b, v67, -v82
	v_rndne_f32_e32 v109, v82
	;; [unrolled: 2-line block ×3, first 2 shown]
	v_rndne_f32_e32 v115, v85
	v_cvt_i32_f32_e32 v89, v89
	v_ldexp_f32 v23, v23, v87
	v_cmp_ngt_f32_e32 vcc_lo, 0xc2ce8ed0, v19
	v_fmac_f32_e32 v92, 0x32a5705f, v45
	v_dual_sub_f32 v80, v80, v105 :: v_dual_add_f32 v72, v73, v90
	v_fma_f32 v112, 0x3fb8aa3b, v69, -v84
	v_rndne_f32_e32 v113, v84
	v_fma_f32 v114, 0x3fb8aa3b, v70, -v85
	v_fma_f32 v116, 0x3fb8aa3b, v71, -v86
	v_rndne_f32_e32 v117, v86
	v_dual_sub_f32 v74, v74, v93 :: v_dual_sub_f32 v75, v75, v95
	v_dual_fmac_f32 v94, 0x32a5705f, v60 :: v_dual_sub_f32 v77, v77, v99
	v_dual_fmac_f32 v96, 0x32a5705f, v61 :: v_dual_sub_f32 v79, v79, v103
	v_dual_sub_f32 v76, v76, v97 :: v_dual_sub_f32 v81, v81, v107
	v_dual_fmac_f32 v98, 0x32a5705f, v62 :: v_dual_sub_f32 v83, v83, v111
	v_dual_sub_f32 v78, v78, v101 :: v_dual_sub_f32 v85, v85, v115
	v_dual_fmac_f32 v104, 0x32a5705f, v65 :: v_dual_add_f32 v73, v74, v92
	v_fmac_f32_e32 v106, 0x32a5705f, v66
	v_fmac_f32_e32 v108, 0x32a5705f, v67
	v_dual_sub_f32 v82, v82, v109 :: v_dual_add_f32 v74, v75, v94
	v_dual_fmac_f32 v110, 0x32a5705f, v68 :: v_dual_cndmask_b32 v23, 0, v23
	v_ldexp_f32 v25, v25, v89
	v_cmp_ngt_f32_e32 vcc_lo, 0xc2ce8ed0, v24
	v_exp_f32_e32 v72, v72
	v_cvt_i32_f32_e32 v91, v91
	v_fmac_f32_e32 v112, 0x32a5705f, v69
	v_sub_f32_e32 v84, v84, v113
	v_dual_sub_f32 v86, v86, v117 :: v_dual_add_f32 v75, v76, v96
	v_dual_add_f32 v76, v77, v98 :: v_dual_add_f32 v77, v78, v100
	v_fmac_f32_e32 v114, 0x32a5705f, v70
	v_dual_add_f32 v78, v79, v102 :: v_dual_add_f32 v79, v80, v104
	v_fmac_f32_e32 v116, 0x32a5705f, v71
	v_dual_add_f32 v80, v81, v106 :: v_dual_add_f32 v81, v82, v108
	v_dual_add_f32 v82, v83, v110 :: v_dual_cndmask_b32 v25, 0, v25
	v_cmp_nlt_f32_e32 vcc_lo, 0x42b17218, v19
	v_ldexp_f32 v72, v72, v91
	v_exp_f32_e32 v73, v73
	v_cvt_i32_f32_e32 v93, v93
	v_add_f32_e32 v83, v84, v112
	v_exp_f32_e32 v74, v74
	v_cvt_i32_f32_e32 v95, v95
	v_exp_f32_e32 v75, v75
	v_cvt_i32_f32_e32 v97, v97
	v_ldexp_f32 v73, v73, v93
	v_exp_f32_e32 v76, v76
	v_cvt_i32_f32_e32 v99, v99
	v_ldexp_f32 v74, v74, v95
	v_exp_f32_e32 v77, v77
	v_ldexp_f32 v75, v75, v97
	v_cvt_i32_f32_e32 v101, v101
	v_exp_f32_e32 v78, v78
	v_ldexp_f32 v76, v76, v99
	v_cvt_i32_f32_e32 v103, v103
	;; [unrolled: 3-line block ×3, first 2 shown]
	v_cvt_i32_f32_e32 v107, v107
	v_ldexp_f32 v78, v78, v103
	v_exp_f32_e32 v81, v81
	v_cvt_i32_f32_e32 v109, v109
	v_ldexp_f32 v79, v79, v105
	v_exp_f32_e32 v82, v82
	v_cvt_i32_f32_e32 v111, v111
	v_exp_f32_e32 v83, v83
	v_cvt_i32_f32_e32 v113, v113
	v_ldexp_f32 v81, v81, v109
	v_cvt_i32_f32_e32 v115, v115
	v_cvt_i32_f32_e32 v117, v117
	v_ldexp_f32 v82, v82, v111
	s_add_nc_u64 s[0:1], s[18:19], s[4:5]
	v_ldexp_f32 v83, v83, v113
	v_mad_nc_i64_i32 v[0:1], s6, 20, v[0:1]
	s_mul_i32 s2, s21, s34
	s_mov_b32 s3, 0
	s_delay_alu instid0(SALU_CYCLE_1) | instskip(NEXT) | instid1(SALU_CYCLE_1)
	s_add_nc_u64 s[0:1], s[0:1], s[2:3]
	s_add_nc_u64 s[0:1], s[0:1], s[10:11]
	s_wait_loadcnt 0x0
	v_mul_f32_e32 v18, v22, v18
	v_cndmask_b32_e32 v22, 0x7f800000, v23, vcc_lo
	v_cmp_nlt_f32_e32 vcc_lo, 0x42b17218, v24
	v_dual_add_f32 v84, v85, v114 :: v_dual_add_f32 v85, v86, v116
	v_exp_f32_e32 v80, v80
	v_cndmask_b32_e32 v23, 0x7f800000, v25, vcc_lo
	v_cmp_ngt_f32_e32 vcc_lo, 0xc2ce8ed0, v44
	s_wait_dscnt 0x3
	v_pk_mul_f32 v[24:25], v[18:19], v[36:37] op_sel_hi:[0,1]
	v_exp_f32_e32 v84, v84
	v_exp_f32_e32 v85, v85
	v_ldexp_f32 v80, v80, v107
	v_cndmask_b32_e32 v19, 0, v72, vcc_lo
	v_cmp_ngt_f32_e32 vcc_lo, 0xc2ce8ed0, v45
	v_pk_fma_f32 v[22:23], v[50:51], v[22:23], v[24:25]
	s_delay_alu instid0(TRANS32_DEP_2) | instskip(NEXT) | instid1(TRANS32_DEP_1)
	v_ldexp_f32 v84, v84, v115
	v_ldexp_f32 v85, v85, v117
	v_cndmask_b32_e32 v36, 0, v73, vcc_lo
	v_cmp_nlt_f32_e32 vcc_lo, 0x42b17218, v44
	v_cndmask_b32_e32 v24, 0x7f800000, v19, vcc_lo
	v_cmp_nlt_f32_e32 vcc_lo, 0x42b17218, v45
	s_delay_alu instid0(VALU_DEP_4)
	v_cndmask_b32_e32 v25, 0x7f800000, v36, vcc_lo
	v_cmp_ngt_f32_e32 vcc_lo, 0xc2ce8ed0, v60
	v_pk_mul_f32 v[36:37], v[18:19], v[38:39] op_sel_hi:[0,1]
	v_fma_f32 v38, v2, v22, 0
	v_cndmask_b32_e32 v2, 0, v74, vcc_lo
	v_cmp_ngt_f32_e32 vcc_lo, 0xc2ce8ed0, v61
	s_delay_alu instid0(VALU_DEP_3) | instskip(SKIP_3) | instid1(VALU_DEP_3)
	v_fmac_f32_e32 v38, v3, v23
	v_pk_fma_f32 v[24:25], v[48:49], v[24:25], v[36:37]
	v_cndmask_b32_e32 v19, 0, v75, vcc_lo
	v_cmp_nlt_f32_e32 vcc_lo, 0x42b17218, v60
	v_fmac_f32_e32 v38, v4, v24
	s_wait_dscnt 0x2
	s_delay_alu instid0(VALU_DEP_3) | instskip(SKIP_4) | instid1(VALU_DEP_2)
	v_pk_mul_f32 v[36:37], v[18:19], v[40:41] op_sel_hi:[0,1]
	v_cndmask_b32_e32 v2, 0x7f800000, v2, vcc_lo
	v_cmp_nlt_f32_e32 vcc_lo, 0x42b17218, v61
	v_dual_fmac_f32 v38, v5, v25 :: v_dual_cndmask_b32 v3, 0x7f800000, v19
	v_cmp_ngt_f32_e32 vcc_lo, 0xc2ce8ed0, v62
	v_pk_fma_f32 v[2:3], v[46:47], v[2:3], v[36:37]
	v_cndmask_b32_e32 v4, 0, v76, vcc_lo
	v_cmp_ngt_f32_e32 vcc_lo, 0xc2ce8ed0, v63
	s_delay_alu instid0(VALU_DEP_3) | instskip(SKIP_1) | instid1(VALU_DEP_2)
	v_dual_fmac_f32 v38, v6, v2 :: v_dual_cndmask_b32 v19, 0, v77
	v_cmp_nlt_f32_e32 vcc_lo, 0x42b17218, v62
	v_fmac_f32_e32 v38, v7, v3
	s_delay_alu instid0(VALU_DEP_3) | instskip(SKIP_4) | instid1(VALU_DEP_2)
	v_pk_mul_f32 v[36:37], v[18:19], v[42:43] op_sel_hi:[0,1]
	v_cndmask_b32_e32 v4, 0x7f800000, v4, vcc_lo
	v_cmp_nlt_f32_e32 vcc_lo, 0x42b17218, v63
	v_cndmask_b32_e32 v5, 0x7f800000, v19, vcc_lo
	v_cmp_ngt_f32_e32 vcc_lo, 0xc2ce8ed0, v64
	v_pk_fma_f32 v[4:5], v[32:33], v[4:5], v[36:37]
	v_cndmask_b32_e32 v6, 0, v78, vcc_lo
	v_cmp_ngt_f32_e32 vcc_lo, 0xc2ce8ed0, v65
	s_delay_alu instid0(VALU_DEP_3) | instskip(SKIP_1) | instid1(VALU_DEP_2)
	v_dual_fmac_f32 v38, v8, v4 :: v_dual_cndmask_b32 v19, 0, v79
	v_cmp_nlt_f32_e32 vcc_lo, 0x42b17218, v64
	v_fmac_f32_e32 v38, v9, v5
	s_wait_dscnt 0x1
	s_delay_alu instid0(VALU_DEP_3) | instskip(SKIP_4) | instid1(VALU_DEP_2)
	v_pk_mul_f32 v[32:33], v[18:19], v[52:53] op_sel_hi:[0,1]
	v_cndmask_b32_e32 v6, 0x7f800000, v6, vcc_lo
	v_cmp_nlt_f32_e32 vcc_lo, 0x42b17218, v65
	v_cndmask_b32_e32 v7, 0x7f800000, v19, vcc_lo
	v_cmp_ngt_f32_e32 vcc_lo, 0xc2ce8ed0, v66
	v_pk_fma_f32 v[6:7], v[28:29], v[6:7], v[32:33]
	v_cndmask_b32_e32 v8, 0, v80, vcc_lo
	v_cmp_ngt_f32_e32 vcc_lo, 0xc2ce8ed0, v67
	s_delay_alu instid0(VALU_DEP_3) | instskip(SKIP_1) | instid1(VALU_DEP_2)
	v_dual_fmac_f32 v38, v10, v6 :: v_dual_cndmask_b32 v19, 0, v81
	v_cmp_nlt_f32_e32 vcc_lo, 0x42b17218, v66
	v_fmac_f32_e32 v38, v11, v7
	s_delay_alu instid0(VALU_DEP_3) | instskip(SKIP_4) | instid1(VALU_DEP_2)
	v_pk_mul_f32 v[28:29], v[18:19], v[54:55] op_sel_hi:[0,1]
	v_cndmask_b32_e32 v8, 0x7f800000, v8, vcc_lo
	v_cmp_nlt_f32_e32 vcc_lo, 0x42b17218, v67
	v_cndmask_b32_e32 v9, 0x7f800000, v19, vcc_lo
	v_cmp_ngt_f32_e32 vcc_lo, 0xc2ce8ed0, v68
	v_pk_fma_f32 v[8:9], v[30:31], v[8:9], v[28:29]
	v_cndmask_b32_e32 v10, 0, v82, vcc_lo
	v_cmp_ngt_f32_e32 vcc_lo, 0xc2ce8ed0, v69
	s_delay_alu instid0(VALU_DEP_3) | instskip(SKIP_1) | instid1(VALU_DEP_2)
	v_dual_fmac_f32 v38, v12, v8 :: v_dual_cndmask_b32 v19, 0, v83
	v_cmp_nlt_f32_e32 vcc_lo, 0x42b17218, v68
	v_fmac_f32_e32 v38, v13, v9
	s_wait_dscnt 0x0
	s_delay_alu instid0(VALU_DEP_3) | instskip(SKIP_4) | instid1(VALU_DEP_2)
	v_pk_mul_f32 v[28:29], v[18:19], v[56:57] op_sel_hi:[0,1]
	v_cndmask_b32_e32 v10, 0x7f800000, v10, vcc_lo
	v_cmp_nlt_f32_e32 vcc_lo, 0x42b17218, v69
	v_cndmask_b32_e32 v11, 0x7f800000, v19, vcc_lo
	v_cmp_ngt_f32_e32 vcc_lo, 0xc2ce8ed0, v70
	v_pk_fma_f32 v[10:11], v[26:27], v[10:11], v[28:29]
	v_cndmask_b32_e32 v12, 0, v84, vcc_lo
	v_cmp_ngt_f32_e32 vcc_lo, 0xc2ce8ed0, v71
	s_delay_alu instid0(VALU_DEP_3) | instskip(SKIP_1) | instid1(VALU_DEP_2)
	v_dual_fmac_f32 v38, v14, v10 :: v_dual_cndmask_b32 v19, 0, v85
	v_cmp_nlt_f32_e32 vcc_lo, 0x42b17218, v70
	v_fmac_f32_e32 v38, v15, v11
	v_lshl_add_u64 v[14:15], v[34:35], 2, s[0:1]
	v_cndmask_b32_e32 v12, 0x7f800000, v12, vcc_lo
	v_cmp_nlt_f32_e32 vcc_lo, 0x42b17218, v71
	v_cndmask_b32_e32 v13, 0x7f800000, v19, vcc_lo
	v_pk_mul_f32 v[18:19], v[18:19], v[58:59] op_sel_hi:[0,1]
	s_delay_alu instid0(VALU_DEP_1) | instskip(NEXT) | instid1(VALU_DEP_1)
	v_pk_fma_f32 v[12:13], v[20:21], v[12:13], v[18:19]
	v_fmac_f32_e32 v38, v16, v12
	s_delay_alu instid0(VALU_DEP_1)
	v_fmac_f32_e32 v38, v17, v13
	global_store_b32 v[0:1], v38, off
	s_wait_storecnt 0x0
	s_barrier_signal -1
	s_barrier_wait -1
	s_clause 0x3
	global_store_b128 v[14:15], v[22:25], off
	global_store_b128 v[14:15], v[2:5], off offset:16
	global_store_b128 v[14:15], v[6:9], off offset:32
	;; [unrolled: 1-line block ×3, first 2 shown]
	s_sendmsg sendmsg(MSG_DEALLOC_VGPRS)
	s_endpgm
	.section	.rodata,"a",@progbits
	.p2align	6, 0x0
	.amdhsa_kernel _Z12ssm_scan_f32ILm128ELm16ELm6EEvPKfS1_S1_S1_S1_S1_PKiPfiiiiiiiiiiilll
		.amdhsa_group_segment_fixed_size 128
		.amdhsa_private_segment_fixed_size 0
		.amdhsa_kernarg_size 136
		.amdhsa_user_sgpr_count 2
		.amdhsa_user_sgpr_dispatch_ptr 0
		.amdhsa_user_sgpr_queue_ptr 0
		.amdhsa_user_sgpr_kernarg_segment_ptr 1
		.amdhsa_user_sgpr_dispatch_id 0
		.amdhsa_user_sgpr_kernarg_preload_length 0
		.amdhsa_user_sgpr_kernarg_preload_offset 0
		.amdhsa_user_sgpr_private_segment_size 0
		.amdhsa_wavefront_size32 1
		.amdhsa_uses_dynamic_stack 0
		.amdhsa_enable_private_segment 0
		.amdhsa_system_sgpr_workgroup_id_x 1
		.amdhsa_system_sgpr_workgroup_id_y 1
		.amdhsa_system_sgpr_workgroup_id_z 0
		.amdhsa_system_sgpr_workgroup_info 0
		.amdhsa_system_vgpr_workitem_id 0
		.amdhsa_next_free_vgpr 144
		.amdhsa_next_free_sgpr 36
		.amdhsa_named_barrier_count 0
		.amdhsa_reserve_vcc 1
		.amdhsa_float_round_mode_32 0
		.amdhsa_float_round_mode_16_64 0
		.amdhsa_float_denorm_mode_32 3
		.amdhsa_float_denorm_mode_16_64 3
		.amdhsa_fp16_overflow 0
		.amdhsa_memory_ordered 1
		.amdhsa_forward_progress 1
		.amdhsa_inst_pref_size 154
		.amdhsa_round_robin_scheduling 0
		.amdhsa_exception_fp_ieee_invalid_op 0
		.amdhsa_exception_fp_denorm_src 0
		.amdhsa_exception_fp_ieee_div_zero 0
		.amdhsa_exception_fp_ieee_overflow 0
		.amdhsa_exception_fp_ieee_underflow 0
		.amdhsa_exception_fp_ieee_inexact 0
		.amdhsa_exception_int_div_zero 0
	.end_amdhsa_kernel
	.section	.text._Z12ssm_scan_f32ILm128ELm16ELm6EEvPKfS1_S1_S1_S1_S1_PKiPfiiiiiiiiiiilll,"axG",@progbits,_Z12ssm_scan_f32ILm128ELm16ELm6EEvPKfS1_S1_S1_S1_S1_PKiPfiiiiiiiiiiilll,comdat
.Lfunc_end7:
	.size	_Z12ssm_scan_f32ILm128ELm16ELm6EEvPKfS1_S1_S1_S1_S1_PKiPfiiiiiiiiiiilll, .Lfunc_end7-_Z12ssm_scan_f32ILm128ELm16ELm6EEvPKfS1_S1_S1_S1_S1_PKiPfiiiiiiiiiiilll
                                        ; -- End function
	.set _Z12ssm_scan_f32ILm128ELm16ELm6EEvPKfS1_S1_S1_S1_S1_PKiPfiiiiiiiiiiilll.num_vgpr, 144
	.set _Z12ssm_scan_f32ILm128ELm16ELm6EEvPKfS1_S1_S1_S1_S1_PKiPfiiiiiiiiiiilll.num_agpr, 0
	.set _Z12ssm_scan_f32ILm128ELm16ELm6EEvPKfS1_S1_S1_S1_S1_PKiPfiiiiiiiiiiilll.numbered_sgpr, 36
	.set _Z12ssm_scan_f32ILm128ELm16ELm6EEvPKfS1_S1_S1_S1_S1_PKiPfiiiiiiiiiiilll.num_named_barrier, 0
	.set _Z12ssm_scan_f32ILm128ELm16ELm6EEvPKfS1_S1_S1_S1_S1_PKiPfiiiiiiiiiiilll.private_seg_size, 0
	.set _Z12ssm_scan_f32ILm128ELm16ELm6EEvPKfS1_S1_S1_S1_S1_PKiPfiiiiiiiiiiilll.uses_vcc, 1
	.set _Z12ssm_scan_f32ILm128ELm16ELm6EEvPKfS1_S1_S1_S1_S1_PKiPfiiiiiiiiiiilll.uses_flat_scratch, 0
	.set _Z12ssm_scan_f32ILm128ELm16ELm6EEvPKfS1_S1_S1_S1_S1_PKiPfiiiiiiiiiiilll.has_dyn_sized_stack, 0
	.set _Z12ssm_scan_f32ILm128ELm16ELm6EEvPKfS1_S1_S1_S1_S1_PKiPfiiiiiiiiiiilll.has_recursion, 0
	.set _Z12ssm_scan_f32ILm128ELm16ELm6EEvPKfS1_S1_S1_S1_S1_PKiPfiiiiiiiiiiilll.has_indirect_call, 0
	.section	.AMDGPU.csdata,"",@progbits
; Kernel info:
; codeLenInByte = 19616
; TotalNumSgprs: 38
; NumVgprs: 144
; ScratchSize: 0
; MemoryBound: 0
; FloatMode: 240
; IeeeMode: 1
; LDSByteSize: 128 bytes/workgroup (compile time only)
; SGPRBlocks: 0
; VGPRBlocks: 8
; NumSGPRsForWavesPerEU: 38
; NumVGPRsForWavesPerEU: 144
; NamedBarCnt: 0
; Occupancy: 7
; WaveLimiterHint : 1
; COMPUTE_PGM_RSRC2:SCRATCH_EN: 0
; COMPUTE_PGM_RSRC2:USER_SGPR: 2
; COMPUTE_PGM_RSRC2:TRAP_HANDLER: 0
; COMPUTE_PGM_RSRC2:TGID_X_EN: 1
; COMPUTE_PGM_RSRC2:TGID_Y_EN: 1
; COMPUTE_PGM_RSRC2:TGID_Z_EN: 0
; COMPUTE_PGM_RSRC2:TIDIG_COMP_CNT: 0
	.section	.text._Z12ssm_scan_f32ILm128ELm16ELm7EEvPKfS1_S1_S1_S1_S1_PKiPfiiiiiiiiiiilll,"axG",@progbits,_Z12ssm_scan_f32ILm128ELm16ELm7EEvPKfS1_S1_S1_S1_S1_PKiPfiiiiiiiiiiilll,comdat
	.protected	_Z12ssm_scan_f32ILm128ELm16ELm7EEvPKfS1_S1_S1_S1_S1_PKiPfiiiiiiiiiiilll ; -- Begin function _Z12ssm_scan_f32ILm128ELm16ELm7EEvPKfS1_S1_S1_S1_S1_PKiPfiiiiiiiiiiilll
	.globl	_Z12ssm_scan_f32ILm128ELm16ELm7EEvPKfS1_S1_S1_S1_S1_PKiPfiiiiiiiiiiilll
	.p2align	8
	.type	_Z12ssm_scan_f32ILm128ELm16ELm7EEvPKfS1_S1_S1_S1_S1_PKiPfiiiiiiiiiiilll,@function
_Z12ssm_scan_f32ILm128ELm16ELm7EEvPKfS1_S1_S1_S1_S1_PKiPfiiiiiiiiiiilll: ; @_Z12ssm_scan_f32ILm128ELm16ELm7EEvPKfS1_S1_S1_S1_S1_PKiPfiiiiiiiiiiilll
; %bb.0:
	s_clause 0x1
	s_load_b512 s[4:19], s[0:1], 0x0
	s_load_b256 s[20:27], s[0:1], 0x40
	s_bfe_u32 s3, ttmp6, 0x4000c
	s_bfe_u32 s28, ttmp6, 0x40010
	s_add_co_i32 s3, s3, 1
	s_add_co_i32 s28, s28, 1
	s_and_b32 s2, ttmp6, 15
	s_bfe_u32 s29, ttmp6, 0x40004
	s_mul_i32 s3, ttmp9, s3
	s_mul_i32 s28, ttmp7, s28
	s_getreg_b32 s30, hwreg(HW_REG_IB_STS2, 6, 4)
	s_add_co_i32 s2, s2, s3
	s_add_co_i32 s29, s29, s28
	s_cmp_eq_u32 s30, 0
	s_mov_b32 s35, 0
	s_cselect_b32 s34, ttmp9, s2
	s_cselect_b32 s2, ttmp7, s29
	v_mov_b32_e32 v35, 0
	v_cmp_gt_u32_e32 vcc_lo, 16, v0
	s_wait_kmcnt 0x0
	s_load_b32 s30, s[16:17], s34 offset:0x0 scale_offset
	s_ashr_i32 s3, s26, 2
	s_ashr_i32 s29, s26, 31
	v_mul_lo_u32 v34, s3, v0
	s_mov_b32 s3, s35
	s_mov_b32 s28, s26
	s_wait_xcnt 0x0
	s_lshl_b64 s[16:17], s[2:3], 7
	s_ashr_i32 s26, s20, 2
	s_mul_u64 s[28:29], s[16:17], s[28:29]
	s_delay_alu instid0(SALU_CYCLE_1)
	s_add_nc_u64 s[10:11], s[10:11], s[28:29]
	s_delay_alu instid0(VALU_DEP_1) | instid1(SALU_CYCLE_1)
	v_lshl_add_u64 v[36:37], v[34:35], 2, s[10:11]
	v_mul_lo_u32 v34, s26, v0
	s_ashr_i32 s11, s20, 31
	s_mov_b32 s10, s20
	s_delay_alu instid0(SALU_CYCLE_1) | instskip(SKIP_4) | instid1(SALU_CYCLE_1)
	s_mul_u64 s[10:11], s[16:17], s[10:11]
	s_wait_kmcnt 0x0
	s_mul_i32 s28, s30, s21
	s_mov_b32 s17, s35
	s_ashr_i32 s29, s28, 31
	s_add_nc_u64 s[4:5], s[4:5], s[28:29]
	s_load_b96 s[28:30], s[0:1], 0x60
	s_add_nc_u64 s[4:5], s[4:5], s[10:11]
	s_delay_alu instid0(SALU_CYCLE_1)
	v_lshl_add_u64 v[38:39], v[34:35], 2, s[4:5]
	s_clause 0x3
	global_load_b128 v[2:5], v[36:37], off offset:48
	global_load_b128 v[6:9], v[36:37], off offset:32
	;; [unrolled: 1-line block ×3, first 2 shown]
	global_load_b128 v[14:17], v[36:37], off
	s_clause 0x3
	global_load_b128 v[18:21], v[38:39], off offset:48
	global_load_b128 v[22:25], v[38:39], off offset:32
	;; [unrolled: 1-line block ×3, first 2 shown]
	global_load_b128 v[30:33], v[38:39], off
	s_wait_xcnt 0x4
	v_dual_mov_b32 v37, v35 :: v_dual_lshlrev_b32 v36, 2, v0
	s_mov_b32 s5, s35
	s_delay_alu instid0(VALU_DEP_1)
	v_add_nc_u32_e32 v54, 64, v36
	s_wait_kmcnt 0x0
	s_mul_i32 s4, s28, s34
	s_mul_i32 s16, s30, s34
	s_add_nc_u64 s[4:5], s[12:13], s[4:5]
	s_add_nc_u64 s[12:13], s[14:15], s[16:17]
	v_add_nc_u64_e32 v[40:41], s[4:5], v[36:37]
	s_wait_xcnt 0x0
	v_add_nc_u64_e32 v[38:39], s[12:13], v[36:37]
	s_and_saveexec_b32 s4, vcc_lo
	s_cbranch_execz .LBB8_2
; %bb.1:
	global_load_b32 v1, v[40:41], off
	global_load_b32 v42, v[38:39], off
	s_wait_loadcnt 0x1
	ds_store_b32 v36, v1
	s_wait_loadcnt 0x0
	ds_store_b32 v54, v42
.LBB8_2:
	s_or_b32 exec_lo, exec_lo, s4
	s_mul_i32 s4, s25, s34
	s_mov_b32 s5, s35
	s_lshl_b64 s[12:13], s[2:3], 9
	s_add_nc_u64 s[2:3], s[8:9], s[4:5]
	s_wait_loadcnt_dscnt 0x0
	s_add_nc_u64 s[4:5], s[2:3], s[12:13]
	s_barrier_signal -1
	s_barrier_wait -1
	global_load_b32 v1, v0, s[4:5] scale_offset
	s_mov_b32 s3, exec_lo
	s_wait_loadcnt 0x0
	v_cmpx_ge_f32_e32 0x41a00000, v1
	s_cbranch_execz .LBB8_4
; %bb.3:
	v_mul_f32_e32 v42, 0x3fb8aa3b, v1
	v_cmp_ngt_f32_e64 s2, 0xc2ce8ed0, v1
	s_delay_alu instid0(VALU_DEP_2) | instskip(SKIP_1) | instid1(VALU_DEP_2)
	v_rndne_f32_e32 v43, v42
	v_fma_f32 v44, 0x3fb8aa3b, v1, -v42
	v_sub_f32_e32 v42, v42, v43
	s_delay_alu instid0(VALU_DEP_2) | instskip(SKIP_1) | instid1(VALU_DEP_2)
	v_fmamk_f32 v44, v1, 0x32a5705f, v44
	v_cvt_i32_f32_e32 v43, v43
	v_add_f32_e32 v42, v42, v44
	s_delay_alu instid0(VALU_DEP_1) | instskip(SKIP_1) | instid1(TRANS32_DEP_1)
	v_exp_f32_e32 v42, v42
	v_nop
	v_ldexp_f32 v42, v42, v43
	s_delay_alu instid0(VALU_DEP_1) | instskip(SKIP_1) | instid1(VALU_DEP_1)
	v_cndmask_b32_e64 v42, 0, v42, s2
	v_cmp_nlt_f32_e64 s2, 0x42b17218, v1
	v_cndmask_b32_e64 v55, 0x7f800000, v42, s2
	s_delay_alu instid0(VALU_DEP_1) | instskip(NEXT) | instid1(VALU_DEP_1)
	v_add_f32_e32 v1, 1.0, v55
	v_cvt_f64_f32_e32 v[42:43], v1
	s_delay_alu instid0(VALU_DEP_1) | instskip(SKIP_1) | instid1(VALU_DEP_1)
	v_frexp_exp_i32_f64_e32 v42, v[42:43]
	v_frexp_mant_f32_e32 v43, v1
	v_cmp_gt_f32_e64 s2, 0x3f2aaaab, v43
	s_delay_alu instid0(VALU_DEP_1) | instskip(SKIP_2) | instid1(VALU_DEP_1)
	v_subrev_co_ci_u32_e64 v48, null, 0, v42, s2
	v_add_f32_e32 v42, -1.0, v1
	s_mov_b32 s2, 0x3e9b6dac
	v_dual_sub_f32 v44, v42, v1 :: v_dual_sub_nc_u32 v43, 0, v48
	s_delay_alu instid0(VALU_DEP_1) | instskip(NEXT) | instid1(VALU_DEP_1)
	v_ldexp_f32 v1, v1, v43
	v_dual_add_f32 v45, 1.0, v1 :: v_dual_add_f32 v47, -1.0, v1
	s_delay_alu instid0(VALU_DEP_3) | instskip(NEXT) | instid1(VALU_DEP_1)
	v_dual_sub_f32 v42, v55, v42 :: v_dual_add_f32 v44, 1.0, v44
	v_dual_add_f32 v42, v42, v44 :: v_dual_add_f32 v44, -1.0, v45
	s_delay_alu instid0(VALU_DEP_1) | instskip(NEXT) | instid1(VALU_DEP_2)
	v_ldexp_f32 v42, v42, v43
	v_sub_f32_e32 v43, v1, v44
	s_delay_alu instid0(VALU_DEP_1) | instskip(NEXT) | instid1(VALU_DEP_1)
	v_add_f32_e32 v46, v42, v43
	v_dual_add_f32 v44, 1.0, v47 :: v_dual_add_f32 v49, v45, v46
	s_delay_alu instid0(VALU_DEP_1) | instskip(NEXT) | instid1(VALU_DEP_2)
	v_sub_f32_e32 v1, v1, v44
	v_rcp_f32_e32 v50, v49
	s_delay_alu instid0(VALU_DEP_1) | instskip(NEXT) | instid1(VALU_DEP_1)
	v_add_f32_e32 v1, v42, v1
	v_add_f32_e32 v43, v47, v1
	s_delay_alu instid0(TRANS32_DEP_1) | instid1(VALU_DEP_1)
	v_mul_f32_e32 v51, v43, v50
	s_delay_alu instid0(VALU_DEP_1) | instskip(SKIP_1) | instid1(VALU_DEP_1)
	v_mul_f32_e32 v44, v49, v51
	v_dual_sub_f32 v42, v45, v49 :: v_dual_sub_f32 v53, v47, v43
	v_dual_add_f32 v52, v46, v42 :: v_dual_fma_f32 v46, v51, v49, -v44
	s_delay_alu instid0(VALU_DEP_1) | instskip(NEXT) | instid1(VALU_DEP_1)
	v_dual_add_f32 v1, v1, v53 :: v_dual_fmac_f32 v46, v51, v52
	v_add_f32_e32 v42, v44, v46
	s_delay_alu instid0(VALU_DEP_1) | instskip(NEXT) | instid1(VALU_DEP_1)
	v_dual_sub_f32 v45, v43, v42 :: v_dual_mov_b32 v47, v42
	v_pk_add_f32 v[42:43], v[42:43], v[44:45] neg_lo:[0,1] neg_hi:[0,1]
	s_delay_alu instid0(VALU_DEP_1) | instskip(NEXT) | instid1(VALU_DEP_1)
	v_pk_add_f32 v[42:43], v[42:43], v[46:47] neg_lo:[0,1] neg_hi:[0,1]
	v_add_f32_e32 v1, v1, v43
	s_delay_alu instid0(VALU_DEP_1) | instskip(NEXT) | instid1(VALU_DEP_1)
	v_add_f32_e32 v1, v42, v1
	v_add_f32_e32 v43, v45, v1
	s_delay_alu instid0(VALU_DEP_1) | instskip(NEXT) | instid1(VALU_DEP_1)
	v_mul_f32_e32 v53, v50, v43
	v_mul_f32_e32 v46, v49, v53
	s_delay_alu instid0(VALU_DEP_1) | instskip(SKIP_1) | instid1(VALU_DEP_2)
	v_fma_f32 v44, v53, v49, -v46
	v_sub_f32_e32 v49, v45, v43
	v_fmac_f32_e32 v44, v53, v52
	s_delay_alu instid0(VALU_DEP_1) | instskip(NEXT) | instid1(VALU_DEP_1)
	v_add_f32_e32 v42, v46, v44
	v_dual_mov_b32 v45, v42 :: v_dual_sub_f32 v47, v43, v42
	s_delay_alu instid0(VALU_DEP_1) | instskip(SKIP_2) | instid1(VALU_DEP_3)
	v_pk_add_f32 v[42:43], v[42:43], v[46:47] neg_lo:[0,1] neg_hi:[0,1]
	v_add_f32_e32 v46, v51, v53
	v_add_f32_e32 v1, v1, v49
	v_pk_add_f32 v[42:43], v[42:43], v[44:45] neg_lo:[0,1] neg_hi:[0,1]
	v_cvt_f32_i32_e32 v44, v48
	s_delay_alu instid0(VALU_DEP_2) | instskip(NEXT) | instid1(VALU_DEP_1)
	v_add_f32_e32 v1, v1, v43
	v_add_f32_e32 v1, v42, v1
	v_sub_f32_e32 v42, v46, v51
	s_delay_alu instid0(VALU_DEP_1) | instskip(NEXT) | instid1(VALU_DEP_1)
	v_dual_sub_f32 v42, v53, v42 :: v_dual_add_f32 v1, v47, v1
	v_mul_f32_e32 v1, v50, v1
	s_delay_alu instid0(VALU_DEP_1) | instskip(NEXT) | instid1(VALU_DEP_1)
	v_dual_add_f32 v1, v42, v1 :: v_dual_mov_b32 v42, 0x3f317218
	v_add_f32_e32 v47, v46, v1
	s_delay_alu instid0(VALU_DEP_1) | instskip(NEXT) | instid1(VALU_DEP_1)
	v_mul_f32_e32 v43, v47, v47
	v_fmaak_f32 v49, s2, v43, 0x3ecc95a3
	v_mul_f32_e32 v45, v47, v43
	v_cmp_neq_f32_e64 s2, 0x7f800000, v55
	s_delay_alu instid0(VALU_DEP_3) | instskip(NEXT) | instid1(VALU_DEP_1)
	v_fmaak_f32 v43, v43, v49, 0x3f2aaada
	v_pk_mul_f32 v[42:43], v[44:45], v[42:43]
	s_delay_alu instid0(VALU_DEP_1) | instskip(NEXT) | instid1(VALU_DEP_1)
	v_fma_f32 v48, 0x3f317218, v44, -v42
	v_fmamk_f32 v44, v44, 0xb102e308, v48
	v_sub_f32_e32 v48, v47, v46
	s_delay_alu instid0(VALU_DEP_1) | instskip(SKIP_2) | instid1(VALU_DEP_3)
	v_sub_f32_e32 v1, v1, v48
	v_ldexp_f32 v45, v47, 1
	v_mov_b32_e32 v48, v42
	v_ldexp_f32 v1, v1, 1
	s_delay_alu instid0(VALU_DEP_3) | instskip(NEXT) | instid1(VALU_DEP_1)
	v_pk_add_f32 v[46:47], v[42:43], v[44:45]
	v_dual_sub_f32 v45, v47, v45 :: v_dual_mov_b32 v58, v47
	s_delay_alu instid0(VALU_DEP_1) | instskip(NEXT) | instid1(VALU_DEP_3)
	v_sub_f32_e32 v45, v43, v45
	v_pk_add_f32 v[42:43], v[46:47], v[42:43] neg_lo:[0,1] neg_hi:[0,1]
	s_delay_alu instid0(VALU_DEP_2) | instskip(NEXT) | instid1(VALU_DEP_1)
	v_dual_add_f32 v49, v1, v45 :: v_dual_mov_b32 v45, v46
	v_pk_add_f32 v[50:51], v[46:47], v[48:49]
	s_delay_alu instid0(VALU_DEP_1) | instskip(NEXT) | instid1(VALU_DEP_1)
	v_mov_b32_e32 v43, v51
	v_pk_add_f32 v[52:53], v[44:45], v[42:43]
	v_mov_b32_e32 v52, v51
	v_pk_add_f32 v[42:43], v[44:45], v[42:43] neg_lo:[0,1] neg_hi:[0,1]
	s_delay_alu instid0(VALU_DEP_3) | instskip(NEXT) | instid1(VALU_DEP_1)
	v_dual_mov_b32 v48, v53 :: v_dual_mov_b32 v43, v53
	v_pk_add_f32 v[56:57], v[48:49], v[46:47] neg_lo:[0,1] neg_hi:[0,1]
	v_dual_mov_b32 v47, v46 :: v_dual_mov_b32 v46, v49
	s_delay_alu instid0(VALU_DEP_2) | instskip(NEXT) | instid1(VALU_DEP_1)
	v_dual_mov_b32 v59, v56 :: v_dual_mov_b32 v1, v56
	v_pk_add_f32 v[56:57], v[52:53], v[58:59] neg_lo:[0,1] neg_hi:[0,1]
	s_delay_alu instid0(VALU_DEP_2) | instskip(SKIP_1) | instid1(VALU_DEP_3)
	v_pk_add_f32 v[44:45], v[50:51], v[0:1] neg_lo:[0,1] neg_hi:[0,1]
	v_mov_b32_e32 v44, v42
	v_pk_add_f32 v[46:47], v[46:47], v[56:57] neg_lo:[0,1] neg_hi:[0,1]
	s_delay_alu instid0(VALU_DEP_1) | instskip(NEXT) | instid1(VALU_DEP_1)
	v_pk_add_f32 v[44:45], v[44:45], v[46:47]
	v_mov_b32_e32 v50, v45
	s_delay_alu instid0(VALU_DEP_1) | instskip(NEXT) | instid1(VALU_DEP_1)
	v_pk_add_f32 v[50:51], v[44:45], v[50:51]
	v_pk_add_f32 v[48:49], v[48:49], v[50:51]
	s_delay_alu instid0(VALU_DEP_1) | instskip(NEXT) | instid1(VALU_DEP_1)
	v_dual_mov_b32 v47, v50 :: v_dual_mov_b32 v45, v48
	v_pk_add_f32 v[52:53], v[44:45], v[42:43] neg_lo:[0,1] neg_hi:[0,1]
	s_delay_alu instid0(VALU_DEP_1) | instskip(NEXT) | instid1(VALU_DEP_2)
	v_sub_f32_e32 v1, v44, v52
	v_pk_add_f32 v[44:45], v[46:47], v[52:53] neg_lo:[0,1] neg_hi:[0,1]
	s_delay_alu instid0(VALU_DEP_2) | instskip(NEXT) | instid1(VALU_DEP_1)
	v_sub_f32_e32 v1, v42, v1
	v_add_f32_e32 v1, v44, v1
	s_delay_alu instid0(VALU_DEP_1) | instskip(NEXT) | instid1(VALU_DEP_1)
	v_add_f32_e32 v1, v1, v45
	v_add_f32_e32 v1, v48, v1
	s_delay_alu instid0(VALU_DEP_1) | instskip(SKIP_1) | instid1(VALU_DEP_1)
	v_cndmask_b32_e64 v1, 0x7f800000, v1, s2
	v_cmp_gt_f32_e64 s2, 0x33800000, v55
	v_cndmask_b32_e64 v1, v1, v55, s2
.LBB8_4:
	s_or_b32 exec_lo, exec_lo, s3
	s_mul_i32 s2, s23, s34
	s_mov_b32 s3, 0
	v_add_nc_u64_e32 v[44:45], s[4:5], v[36:37]
	s_add_nc_u64 s[2:3], s[6:7], s[2:3]
	v_dual_mov_b32 v37, 0 :: v_dual_mul_f32 v43, v1, v14
	s_add_nc_u64 s[14:15], s[2:3], s[12:13]
	v_dual_mul_f32 v55, v1, v15 :: v_dual_mul_f32 v81, v1, v16
	global_load_b32 v42, v0, s[14:15] scale_offset
	v_dual_mul_f32 v83, v1, v17 :: v_dual_mul_f32 v84, v1, v10
	v_dual_mul_f32 v85, v1, v11 :: v_dual_mul_f32 v86, v1, v12
	;; [unrolled: 1-line block ×4, first 2 shown]
	s_delay_alu instid0(VALU_DEP_3) | instskip(SKIP_4) | instid1(VALU_DEP_4)
	v_dual_mul_f32 v82, 0x3fb8aa3b, v55 :: v_dual_mul_f32 v99, 0x3fb8aa3b, v85
	v_dual_mul_f32 v89, v1, v7 :: v_dual_mul_f32 v90, v1, v8
	;; [unrolled: 1-line block ×6, first 2 shown]
	v_rndne_f32_e32 v111, v80
	v_fma_f32 v112, 0x3fb8aa3b, v55, -v82
	v_rndne_f32_e32 v113, v82
	v_dual_mul_f32 v93, v1, v3 :: v_dual_mul_f32 v94, v1, v4
	v_dual_mul_f32 v102, 0x3fb8aa3b, v88 :: v_dual_mul_f32 v105, 0x3fb8aa3b, v91
	v_fma_f32 v110, 0x3fb8aa3b, v43, -v80
	v_fma_f32 v116, 0x3fb8aa3b, v83, -v97
	v_rndne_f32_e32 v117, v97
	v_rndne_f32_e32 v123, v100
	;; [unrolled: 1-line block ×3, first 2 shown]
	v_dual_sub_f32 v80, v80, v111 :: v_dual_sub_f32 v82, v82, v113
	v_fmac_f32_e32 v112, 0x32a5705f, v55
	v_dual_mul_f32 v106, 0x3fb8aa3b, v92 :: v_dual_mul_f32 v109, 0x3fb8aa3b, v95
	v_dual_mul_f32 v108, 0x3fb8aa3b, v94 :: v_dual_sub_f32 v97, v97, v117
	v_fma_f32 v114, 0x3fb8aa3b, v81, -v96
	v_rndne_f32_e32 v121, v99
	v_fma_f32 v122, 0x3fb8aa3b, v86, -v100
	v_fma_f32 v124, 0x3fb8aa3b, v87, -v101
	v_rndne_f32_e32 v127, v102
	v_rndne_f32_e32 v133, v105
	v_fmac_f32_e32 v110, 0x32a5705f, v43
	v_dual_fmac_f32 v116, 0x32a5705f, v83 :: v_dual_sub_f32 v101, v101, v125
	v_dual_sub_f32 v100, v100, v123 :: v_dual_add_f32 v82, v82, v112
	v_rndne_f32_e32 v119, v98
	v_fma_f32 v132, 0x3fb8aa3b, v91, -v105
	v_fma_f32 v140, 0x3fb8aa3b, v95, -v109
	v_rndne_f32_e32 v141, v109
	v_rndne_f32_e32 v115, v96
	v_fma_f32 v120, 0x3fb8aa3b, v85, -v99
	v_fma_f32 v126, 0x3fb8aa3b, v88, -v102
	v_dual_sub_f32 v99, v99, v121 :: v_dual_sub_f32 v102, v102, v127
	v_dual_add_f32 v80, v80, v110 :: v_dual_sub_f32 v105, v105, v133
	v_dual_fmac_f32 v114, 0x32a5705f, v81 :: v_dual_add_f32 v97, v97, v116
	v_exp_f32_e32 v82, v82
	v_fma_f32 v118, 0x3fb8aa3b, v84, -v98
	v_fma_f32 v128, 0x3fb8aa3b, v89, -v103
	v_rndne_f32_e32 v129, v103
	v_cvt_i32_f32_e32 v113, v113
	v_dual_sub_f32 v98, v98, v119 :: v_dual_sub_f32 v109, v109, v141
	v_fmac_f32_e32 v140, 0x32a5705f, v95
	v_fmac_f32_e32 v132, 0x32a5705f, v91
	v_dual_mul_f32 v104, 0x3fb8aa3b, v90 :: v_dual_mul_f32 v107, 0x3fb8aa3b, v93
	v_rndne_f32_e32 v135, v106
	v_dual_sub_f32 v96, v96, v115 :: v_dual_sub_f32 v103, v103, v129
	v_exp_f32_e32 v80, v80
	v_exp_f32_e32 v97, v97
	s_load_b128 s[4:7], s[0:1], 0x70
	v_cvt_i32_f32_e32 v111, v111
	v_cvt_i32_f32_e32 v117, v117
	v_dual_add_f32 v109, v109, v140 :: v_dual_fmac_f32 v128, 0x32a5705f, v89
	v_dual_add_f32 v105, v105, v132 :: v_dual_fmac_f32 v124, 0x32a5705f, v87
	v_ldexp_f32 v82, v82, v113
	s_wait_xcnt 0x0
	v_cmp_ngt_f32_e64 s0, 0xc2ce8ed0, v55
	v_rndne_f32_e32 v131, v104
	v_fma_f32 v134, 0x3fb8aa3b, v92, -v106
	v_rndne_f32_e32 v137, v107
	v_fmac_f32_e32 v118, 0x32a5705f, v84
	v_dual_sub_f32 v106, v106, v135 :: v_dual_add_f32 v96, v96, v114
	v_dual_add_f32 v103, v103, v128 :: v_dual_fmac_f32 v120, 0x32a5705f, v85
	v_dual_add_f32 v101, v101, v124 :: v_dual_fmac_f32 v122, 0x32a5705f, v86
	v_ldexp_f32 v80, v80, v111
	v_ldexp_f32 v97, v97, v117
	v_cndmask_b32_e64 v82, 0, v82, s0
	v_cmp_ngt_f32_e64 s0, 0xc2ce8ed0, v43
	v_fma_f32 v130, 0x3fb8aa3b, v90, -v104
	v_fma_f32 v136, 0x3fb8aa3b, v93, -v107
	v_dual_sub_f32 v107, v107, v137 :: v_dual_sub_f32 v104, v104, v131
	v_add_f32_e32 v98, v98, v118
	v_exp_f32_e32 v96, v96
	v_cvt_i32_f32_e32 v115, v115
	v_dual_add_f32 v99, v99, v120 :: v_dual_add_f32 v100, v100, v122
	v_cndmask_b32_e64 v110, 0, v80, s0
	v_cmp_ngt_f32_e64 s0, 0xc2ce8ed0, v83
	v_exp_f32_e32 v98, v98
	v_cvt_i32_f32_e32 v119, v119
	v_ldexp_f32 v96, v96, v115
	v_exp_f32_e32 v99, v99
	v_cndmask_b32_e64 v97, 0, v97, s0
	v_cmp_ngt_f32_e64 s0, 0xc2ce8ed0, v81
	v_cvt_i32_f32_e32 v121, v121
	v_ldexp_f32 v98, v98, v119
	v_exp_f32_e32 v100, v100
	v_cvt_i32_f32_e32 v123, v123
	v_cndmask_b32_e64 v96, 0, v96, s0
	v_cmp_ngt_f32_e64 s0, 0xc2ce8ed0, v84
	v_ldexp_f32 v99, v99, v121
	ds_load_b128 v[46:49], v37
	ds_load_b128 v[50:53], v37 offset:16
	ds_load_b128 v[56:59], v37 offset:32
	;; [unrolled: 1-line block ×7, first 2 shown]
	v_cndmask_b32_e64 v98, 0, v98, s0
	v_cmp_ngt_f32_e64 s0, 0xc2ce8ed0, v85
	v_rndne_f32_e32 v139, v108
	v_fmac_f32_e32 v126, 0x32a5705f, v88
	v_exp_f32_e32 v101, v101
	v_cvt_i32_f32_e32 v125, v125
	v_ldexp_f32 v100, v100, v123
	v_cndmask_b32_e64 v99, 0, v99, s0
	v_cmp_ngt_f32_e64 s0, 0xc2ce8ed0, v86
	v_fma_f32 v138, 0x3fb8aa3b, v94, -v108
	v_dual_sub_f32 v108, v108, v139 :: v_dual_add_f32 v102, v102, v126
	v_exp_f32_e32 v103, v103
	v_cvt_i32_f32_e32 v129, v129
	v_ldexp_f32 v101, v101, v125
	v_cndmask_b32_e64 v100, 0, v100, s0
	v_cmp_ngt_f32_e64 s0, 0xc2ce8ed0, v87
	v_exp_f32_e32 v102, v102
	v_cvt_i32_f32_e32 v127, v127
	v_ldexp_f32 v103, v103, v129
	v_exp_f32_e32 v105, v105
	v_cndmask_b32_e64 v101, 0, v101, s0
	v_cmp_ngt_f32_e64 s0, 0xc2ce8ed0, v89
	v_cvt_i32_f32_e32 v133, v133
	v_ldexp_f32 v102, v102, v127
	v_cvt_i32_f32_e32 v131, v131
	v_cvt_i32_f32_e32 v135, v135
	v_cndmask_b32_e64 v103, 0, v103, s0
	v_cmp_ngt_f32_e64 s0, 0xc2ce8ed0, v88
	v_ldexp_f32 v105, v105, v133
	v_cvt_i32_f32_e32 v137, v137
	v_exp_f32_e32 v109, v109
	v_cvt_i32_f32_e32 v141, v141
	v_cndmask_b32_e64 v102, 0, v102, s0
	v_cmp_nlt_f32_e64 s0, 0x42b17218, v43
	v_cvt_i32_f32_e32 v139, v139
	s_ashr_i32 s8, s27, 2
	s_ashr_i32 s2, s29, 2
	v_ldexp_f32 v109, v109, v141
	s_ashr_i32 s9, s8, 31
	s_ashr_i32 s3, s2, 31
	s_wait_loadcnt 0x0
	v_mul_f32_e32 v80, v1, v42
	v_cndmask_b32_e64 v42, 0x7f800000, v110, s0
	v_cmp_nlt_f32_e64 s0, 0x42b17218, v55
	s_wait_dscnt 0x7
	s_delay_alu instid0(VALU_DEP_3) | instskip(NEXT) | instid1(VALU_DEP_2)
	v_pk_mul_f32 v[46:47], v[80:81], v[46:47] op_sel_hi:[0,1]
	v_cndmask_b32_e64 v43, 0x7f800000, v82, s0
	v_cmp_ngt_f32_e64 s0, 0xc2ce8ed0, v91
	s_delay_alu instid0(VALU_DEP_2) | instskip(NEXT) | instid1(VALU_DEP_2)
	v_pk_fma_f32 v[42:43], v[30:31], v[42:43], v[46:47]
	v_cndmask_b32_e64 v1, 0, v105, s0
	v_cmp_nlt_f32_e64 s0, 0x42b17218, v81
	v_pk_mul_f32 v[46:47], v[80:81], v[48:49] op_sel_hi:[0,1]
	s_wait_dscnt 0x6
	v_pk_mul_f32 v[48:49], v[80:81], v[50:51] op_sel_hi:[0,1]
	s_wait_dscnt 0x3
	v_fma_f32 v55, v64, v42, 0
	v_cndmask_b32_e64 v82, 0x7f800000, v96, s0
	v_cmp_nlt_f32_e64 s0, 0x42b17218, v83
	s_delay_alu instid0(VALU_DEP_3) | instskip(NEXT) | instid1(VALU_DEP_2)
	v_fmac_f32_e32 v55, v65, v43
	v_cndmask_b32_e64 v83, 0x7f800000, v97, s0
	v_cmp_nlt_f32_e64 s0, 0x42b17218, v84
	s_delay_alu instid0(VALU_DEP_2) | instskip(NEXT) | instid1(VALU_DEP_2)
	v_pk_fma_f32 v[32:33], v[32:33], v[82:83], v[46:47]
	v_cndmask_b32_e64 v30, 0x7f800000, v98, s0
	v_cmp_nlt_f32_e64 s0, 0x42b17218, v85
	s_delay_alu instid0(VALU_DEP_3) | instskip(SKIP_1) | instid1(VALU_DEP_3)
	v_dual_fmac_f32 v136, 0x32a5705f, v93 :: v_dual_fmac_f32 v55, v66, v32
	v_fmac_f32_e32 v130, 0x32a5705f, v90
	v_cndmask_b32_e64 v31, 0x7f800000, v99, s0
	v_fmac_f32_e32 v134, 0x32a5705f, v92
	s_delay_alu instid0(VALU_DEP_4)
	v_add_f32_e32 v107, v107, v136
	v_fmac_f32_e32 v55, v67, v33
	v_cmp_ngt_f32_e64 s0, 0xc2ce8ed0, v90
	v_pk_fma_f32 v[30:31], v[26:27], v[30:31], v[48:49]
	v_pk_mul_f32 v[26:27], v[80:81], v[52:53] op_sel_hi:[0,1]
	v_exp_f32_e32 v107, v107
	s_wait_dscnt 0x2
	s_delay_alu instid0(VALU_DEP_2) | instskip(SKIP_1) | instid1(TRANS32_DEP_1)
	v_pk_mul_f32 v[48:49], v[68:69], v[30:31]
	v_add_f32_e32 v104, v104, v130
	v_ldexp_f32 v107, v107, v137
	s_delay_alu instid0(VALU_DEP_3) | instskip(NEXT) | instid1(VALU_DEP_3)
	v_add_f32_e32 v48, v55, v48
	v_exp_f32_e32 v104, v104
	s_delay_alu instid0(VALU_DEP_1) | instskip(NEXT) | instid1(TRANS32_DEP_1)
	v_dual_fmac_f32 v138, 0x32a5705f, v94 :: v_dual_add_f32 v49, v48, v49
	v_ldexp_f32 v104, v104, v131
	s_delay_alu instid0(VALU_DEP_1) | instskip(SKIP_1) | instid1(VALU_DEP_2)
	v_dual_add_f32 v106, v106, v134 :: v_dual_cndmask_b32 v64, 0, v104, s0
	v_cmp_nlt_f32_e64 s0, 0x42b17218, v86
	v_exp_f32_e32 v106, v106
	s_delay_alu instid0(VALU_DEP_1) | instskip(SKIP_1) | instid1(TRANS32_DEP_1)
	v_cndmask_b32_e64 v46, 0x7f800000, v100, s0
	v_cmp_nlt_f32_e64 s0, 0x42b17218, v87
	v_ldexp_f32 v106, v106, v135
	s_delay_alu instid0(VALU_DEP_2) | instskip(SKIP_1) | instid1(VALU_DEP_2)
	v_cndmask_b32_e64 v47, 0x7f800000, v101, s0
	v_cmp_ngt_f32_e64 s0, 0xc2ce8ed0, v92
	v_pk_fma_f32 v[26:27], v[28:29], v[46:47], v[26:27]
	s_delay_alu instid0(VALU_DEP_2) | instskip(SKIP_1) | instid1(VALU_DEP_3)
	v_cndmask_b32_e64 v52, 0, v106, s0
	v_cmp_nlt_f32_e64 s0, 0x42b17218, v88
	v_pk_mul_f32 v[46:47], v[70:71], v[26:27]
	s_delay_alu instid0(VALU_DEP_2) | instskip(SKIP_1) | instid1(VALU_DEP_3)
	v_cndmask_b32_e64 v50, 0x7f800000, v102, s0
	v_cmp_nlt_f32_e64 s0, 0x42b17218, v89
	v_add_f32_e32 v46, v49, v46
	s_delay_alu instid0(VALU_DEP_2) | instskip(SKIP_1) | instid1(VALU_DEP_1)
	v_cndmask_b32_e64 v51, 0x7f800000, v103, s0
	v_cmp_ngt_f32_e64 s0, 0xc2ce8ed0, v93
	v_dual_add_f32 v108, v108, v138 :: v_dual_cndmask_b32 v53, 0, v107, s0
	v_cmp_nlt_f32_e64 s0, 0x42b17218, v90
	s_delay_alu instid0(VALU_DEP_2) | instskip(NEXT) | instid1(VALU_DEP_1)
	v_exp_f32_e32 v108, v108
	v_cndmask_b32_e64 v48, 0x7f800000, v64, s0
	v_cmp_nlt_f32_e64 s0, 0x42b17218, v91
	s_delay_alu instid0(TRANS32_DEP_1) | instskip(NEXT) | instid1(VALU_DEP_2)
	v_ldexp_f32 v108, v108, v139
	v_cndmask_b32_e64 v49, 0x7f800000, v1, s0
	v_add_f32_e32 v1, v46, v47
	v_pk_mul_f32 v[28:29], v[80:81], v[56:57] op_sel_hi:[0,1]
	v_cmp_ngt_f32_e64 s0, 0xc2ce8ed0, v94
	s_delay_alu instid0(VALU_DEP_2) | instskip(NEXT) | instid1(VALU_DEP_2)
	v_pk_fma_f32 v[22:23], v[22:23], v[50:51], v[28:29]
	v_cndmask_b32_e64 v55, 0, v108, s0
	v_cmp_nlt_f32_e64 s0, 0x42b17218, v92
	v_pk_mul_f32 v[28:29], v[80:81], v[58:59] op_sel_hi:[0,1]
	s_wait_dscnt 0x1
	v_pk_mul_f32 v[50:51], v[72:73], v[22:23]
	s_delay_alu instid0(VALU_DEP_3) | instskip(SKIP_2) | instid1(VALU_DEP_4)
	v_cndmask_b32_e64 v46, 0x7f800000, v52, s0
	v_cmp_nlt_f32_e64 s0, 0x42b17218, v93
	v_pk_fma_f32 v[24:25], v[24:25], v[48:49], v[28:29]
	v_add_f32_e32 v1, v1, v50
	v_pk_mul_f32 v[28:29], v[80:81], v[60:61] op_sel_hi:[0,1]
	s_delay_alu instid0(VALU_DEP_4) | instskip(SKIP_3) | instid1(VALU_DEP_4)
	v_cndmask_b32_e64 v47, 0x7f800000, v53, s0
	v_cmp_ngt_f32_e64 s0, 0xc2ce8ed0, v95
	v_pk_mul_f32 v[48:49], v[74:75], v[24:25]
	v_add_f32_e32 v1, v1, v51
	v_pk_fma_f32 v[18:19], v[18:19], v[46:47], v[28:29]
	s_delay_alu instid0(VALU_DEP_4) | instskip(SKIP_1) | instid1(VALU_DEP_4)
	v_cndmask_b32_e64 v51, 0, v109, s0
	v_cmp_nlt_f32_e64 s0, 0x42b17218, v94
	v_add_f32_e32 v1, v1, v48
	v_pk_mul_f32 v[28:29], v[80:81], v[62:63] op_sel_hi:[0,1]
	s_wait_dscnt 0x0
	v_pk_mul_f32 v[46:47], v[76:77], v[18:19]
	v_cndmask_b32_e64 v50, 0x7f800000, v55, s0
	v_cmp_nlt_f32_e64 s0, 0x42b17218, v95
	v_add_f32_e32 v1, v1, v49
	s_delay_alu instid0(VALU_DEP_2) | instskip(NEXT) | instid1(VALU_DEP_2)
	v_cndmask_b32_e64 v51, 0x7f800000, v51, s0
	v_add_f32_e32 v1, v1, v46
	s_wait_kmcnt 0x0
	s_mul_u64 s[0:1], s[34:35], s[6:7]
	s_delay_alu instid0(SALU_CYCLE_1) | instskip(SKIP_3) | instid1(SALU_CYCLE_1)
	s_mul_u64 s[0:1], s[0:1], 28
	v_pk_fma_f32 v[20:21], v[20:21], v[50:51], v[28:29]
	v_add_f32_e32 v1, v1, v47
	s_add_nc_u64 s[0:1], s[18:19], s[0:1]
	s_add_nc_u64 s[0:1], s[0:1], s[12:13]
	s_delay_alu instid0(VALU_DEP_2) | instskip(NEXT) | instid1(VALU_DEP_1)
	v_pk_mul_f32 v[28:29], v[78:79], v[20:21]
	v_add_f32_e32 v1, v1, v28
	s_delay_alu instid0(VALU_DEP_1)
	v_add_f32_e32 v1, v1, v29
	global_store_b32 v0, v1, s[0:1] scale_offset
	s_wait_storecnt 0x0
	s_barrier_signal -1
	s_barrier_wait -1
	s_wait_xcnt 0x0
	s_and_saveexec_b32 s12, vcc_lo
	s_cbranch_execz .LBB8_6
; %bb.5:
	v_lshl_add_u64 v[0:1], s[8:9], 2, v[40:41]
	v_lshl_add_u64 v[28:29], s[2:3], 2, v[38:39]
	global_load_b32 v46, v[0:1], off
	global_load_b32 v47, v[28:29], off
	s_wait_loadcnt 0x1
	ds_store_b32 v36, v46
	s_wait_loadcnt 0x0
	ds_store_b32 v54, v47
.LBB8_6:
	s_or_b32 exec_lo, exec_lo, s12
	s_ashr_i32 s12, s24, 2
	s_wait_dscnt 0x0
	s_ashr_i32 s13, s12, 31
	s_barrier_signal -1
	v_lshl_add_u64 v[28:29], s[12:13], 2, v[44:45]
	s_barrier_wait -1
	v_add_nc_u64_e32 v[44:45], s[14:15], v[36:37]
	v_add_nc_u64_e32 v[0:1], s[0:1], v[36:37]
	global_load_b32 v46, v[28:29], off
	s_mov_b32 s1, exec_lo
	s_wait_loadcnt 0x0
	v_cmpx_ge_f32_e32 0x41a00000, v46
	s_cbranch_execz .LBB8_8
; %bb.7:
	v_mul_f32_e32 v37, 0x3fb8aa3b, v46
	v_cmp_ngt_f32_e64 s0, 0xc2ce8ed0, v46
	s_delay_alu instid0(VALU_DEP_2) | instskip(SKIP_1) | instid1(VALU_DEP_1)
	v_rndne_f32_e32 v47, v37
	v_fma_f32 v48, 0x3fb8aa3b, v46, -v37
	v_dual_sub_f32 v37, v37, v47 :: v_dual_fmamk_f32 v48, v46, 0x32a5705f, v48
	v_cvt_i32_f32_e32 v47, v47
	s_delay_alu instid0(VALU_DEP_2) | instskip(NEXT) | instid1(VALU_DEP_1)
	v_add_f32_e32 v37, v37, v48
	v_exp_f32_e32 v37, v37
	v_nop
	s_delay_alu instid0(TRANS32_DEP_1) | instskip(NEXT) | instid1(VALU_DEP_1)
	v_ldexp_f32 v37, v37, v47
	v_cndmask_b32_e64 v37, 0, v37, s0
	v_cmp_nlt_f32_e64 s0, 0x42b17218, v46
	s_delay_alu instid0(VALU_DEP_1) | instskip(NEXT) | instid1(VALU_DEP_1)
	v_cndmask_b32_e64 v55, 0x7f800000, v37, s0
	v_add_f32_e32 v37, 1.0, v55
	s_delay_alu instid0(VALU_DEP_1) | instskip(NEXT) | instid1(VALU_DEP_1)
	v_cvt_f64_f32_e32 v[46:47], v37
	v_frexp_exp_i32_f64_e32 v46, v[46:47]
	v_frexp_mant_f32_e32 v47, v37
	s_delay_alu instid0(VALU_DEP_1) | instskip(NEXT) | instid1(VALU_DEP_1)
	v_cmp_gt_f32_e64 s0, 0x3f2aaaab, v47
	v_subrev_co_ci_u32_e64 v52, null, 0, v46, s0
	v_add_f32_e32 v46, -1.0, v37
	s_mov_b32 s0, 0x3e9b6dac
	s_delay_alu instid0(VALU_DEP_1) | instskip(NEXT) | instid1(VALU_DEP_1)
	v_dual_sub_f32 v48, v46, v37 :: v_dual_sub_nc_u32 v47, 0, v52
	v_dual_sub_f32 v46, v55, v46 :: v_dual_add_f32 v48, 1.0, v48
	s_delay_alu instid0(VALU_DEP_1) | instskip(NEXT) | instid1(VALU_DEP_3)
	v_add_f32_e32 v46, v46, v48
	v_ldexp_f32 v37, v37, v47
	s_delay_alu instid0(VALU_DEP_2) | instskip(NEXT) | instid1(VALU_DEP_2)
	v_ldexp_f32 v46, v46, v47
	v_dual_add_f32 v49, 1.0, v37 :: v_dual_add_f32 v51, -1.0, v37
	s_delay_alu instid0(VALU_DEP_1) | instskip(NEXT) | instid1(VALU_DEP_1)
	v_add_f32_e32 v48, -1.0, v49
	v_dual_sub_f32 v47, v37, v48 :: v_dual_add_f32 v48, 1.0, v51
	s_delay_alu instid0(VALU_DEP_1) | instskip(NEXT) | instid1(VALU_DEP_1)
	v_dual_add_f32 v50, v46, v47 :: v_dual_sub_f32 v37, v37, v48
	v_dual_add_f32 v53, v49, v50 :: v_dual_add_f32 v37, v46, v37
	s_delay_alu instid0(VALU_DEP_1) | instskip(SKIP_1) | instid1(VALU_DEP_1)
	v_sub_f32_e32 v46, v49, v53
	v_rcp_f32_e32 v56, v53
	v_dual_add_f32 v58, v50, v46 :: v_dual_add_f32 v47, v51, v37
	s_delay_alu instid0(TRANS32_DEP_1) | instid1(VALU_DEP_1)
	v_mul_f32_e32 v57, v47, v56
	s_delay_alu instid0(VALU_DEP_1) | instskip(NEXT) | instid1(VALU_DEP_1)
	v_mul_f32_e32 v48, v53, v57
	v_fma_f32 v50, v57, v53, -v48
	s_delay_alu instid0(VALU_DEP_1) | instskip(NEXT) | instid1(VALU_DEP_1)
	v_dual_fmac_f32 v50, v57, v58 :: v_dual_sub_f32 v59, v51, v47
	v_dual_add_f32 v46, v48, v50 :: v_dual_add_f32 v37, v37, v59
	s_delay_alu instid0(VALU_DEP_1) | instskip(NEXT) | instid1(VALU_DEP_1)
	v_dual_sub_f32 v49, v47, v46 :: v_dual_mov_b32 v51, v46
	v_pk_add_f32 v[46:47], v[46:47], v[48:49] neg_lo:[0,1] neg_hi:[0,1]
	s_delay_alu instid0(VALU_DEP_1) | instskip(NEXT) | instid1(VALU_DEP_1)
	v_pk_add_f32 v[46:47], v[46:47], v[50:51] neg_lo:[0,1] neg_hi:[0,1]
	v_add_f32_e32 v37, v37, v47
	s_delay_alu instid0(VALU_DEP_1) | instskip(NEXT) | instid1(VALU_DEP_1)
	v_add_f32_e32 v37, v46, v37
	v_add_f32_e32 v47, v49, v37
	s_delay_alu instid0(VALU_DEP_1) | instskip(NEXT) | instid1(VALU_DEP_1)
	v_mul_f32_e32 v59, v56, v47
	v_mul_f32_e32 v50, v53, v59
	s_delay_alu instid0(VALU_DEP_1) | instskip(NEXT) | instid1(VALU_DEP_1)
	v_fma_f32 v48, v59, v53, -v50
	v_dual_fmac_f32 v48, v59, v58 :: v_dual_sub_f32 v53, v49, v47
	s_delay_alu instid0(VALU_DEP_1) | instskip(NEXT) | instid1(VALU_DEP_1)
	v_dual_add_f32 v46, v50, v48 :: v_dual_add_f32 v37, v37, v53
	v_dual_sub_f32 v51, v47, v46 :: v_dual_mov_b32 v49, v46
	s_delay_alu instid0(VALU_DEP_1) | instskip(NEXT) | instid1(VALU_DEP_1)
	v_pk_add_f32 v[46:47], v[46:47], v[50:51] neg_lo:[0,1] neg_hi:[0,1]
	v_pk_add_f32 v[46:47], v[46:47], v[48:49] neg_lo:[0,1] neg_hi:[0,1]
	v_add_f32_e32 v50, v57, v59
	v_cvt_f32_i32_e32 v48, v52
	s_delay_alu instid0(VALU_DEP_3) | instskip(NEXT) | instid1(VALU_DEP_1)
	v_add_f32_e32 v37, v37, v47
	v_add_f32_e32 v37, v46, v37
	s_delay_alu instid0(VALU_DEP_4) | instskip(NEXT) | instid1(VALU_DEP_2)
	v_sub_f32_e32 v46, v50, v57
	v_add_f32_e32 v37, v51, v37
	s_delay_alu instid0(VALU_DEP_1) | instskip(NEXT) | instid1(VALU_DEP_1)
	v_dual_sub_f32 v46, v59, v46 :: v_dual_mul_f32 v37, v56, v37
	v_dual_add_f32 v37, v46, v37 :: v_dual_mov_b32 v46, 0x3f317218
	s_delay_alu instid0(VALU_DEP_1) | instskip(NEXT) | instid1(VALU_DEP_1)
	v_add_f32_e32 v51, v50, v37
	v_mul_f32_e32 v47, v51, v51
	s_delay_alu instid0(VALU_DEP_1) | instskip(SKIP_2) | instid1(VALU_DEP_3)
	v_fmaak_f32 v53, s0, v47, 0x3ecc95a3
	v_mul_f32_e32 v49, v51, v47
	v_cmp_neq_f32_e64 s0, 0x7f800000, v55
	v_fmaak_f32 v47, v47, v53, 0x3f2aaada
	s_delay_alu instid0(VALU_DEP_1) | instskip(NEXT) | instid1(VALU_DEP_1)
	v_pk_mul_f32 v[46:47], v[48:49], v[46:47]
	v_fma_f32 v52, 0x3f317218, v48, -v46
	s_delay_alu instid0(VALU_DEP_1) | instskip(SKIP_2) | instid1(VALU_DEP_2)
	v_fmamk_f32 v48, v48, 0xb102e308, v52
	v_ldexp_f32 v49, v51, 1
	v_sub_f32_e32 v52, v51, v50
	v_pk_add_f32 v[50:51], v[46:47], v[48:49]
	s_delay_alu instid0(VALU_DEP_2) | instskip(NEXT) | instid1(VALU_DEP_2)
	v_dual_sub_f32 v37, v37, v52 :: v_dual_mov_b32 v52, v46
	v_sub_f32_e32 v49, v51, v49
	s_delay_alu instid0(VALU_DEP_2) | instskip(SKIP_1) | instid1(VALU_DEP_3)
	v_ldexp_f32 v37, v37, 1
	v_mov_b32_e32 v62, v51
	v_sub_f32_e32 v49, v47, v49
	v_pk_add_f32 v[46:47], v[50:51], v[46:47] neg_lo:[0,1] neg_hi:[0,1]
	s_delay_alu instid0(VALU_DEP_2) | instskip(NEXT) | instid1(VALU_DEP_1)
	v_dual_add_f32 v53, v37, v49 :: v_dual_mov_b32 v49, v50
	v_pk_add_f32 v[56:57], v[50:51], v[52:53]
	s_delay_alu instid0(VALU_DEP_1) | instskip(NEXT) | instid1(VALU_DEP_1)
	v_mov_b32_e32 v47, v57
	v_pk_add_f32 v[58:59], v[48:49], v[46:47]
	v_pk_add_f32 v[46:47], v[48:49], v[46:47] neg_lo:[0,1] neg_hi:[0,1]
	s_delay_alu instid0(VALU_DEP_2) | instskip(NEXT) | instid1(VALU_DEP_1)
	v_dual_mov_b32 v52, v59 :: v_dual_mov_b32 v47, v59
	v_pk_add_f32 v[60:61], v[52:53], v[50:51] neg_lo:[0,1] neg_hi:[0,1]
	v_dual_mov_b32 v58, v57 :: v_dual_mov_b32 v51, v50
	s_delay_alu instid0(VALU_DEP_2) | instskip(SKIP_1) | instid1(VALU_DEP_2)
	v_dual_mov_b32 v50, v53 :: v_dual_mov_b32 v63, v60
	v_mov_b32_e32 v37, v60
	v_pk_add_f32 v[60:61], v[58:59], v[62:63] neg_lo:[0,1] neg_hi:[0,1]
	s_delay_alu instid0(VALU_DEP_2) | instskip(SKIP_1) | instid1(VALU_DEP_3)
	v_pk_add_f32 v[48:49], v[56:57], v[36:37] neg_lo:[0,1] neg_hi:[0,1]
	v_mov_b32_e32 v48, v46
	v_pk_add_f32 v[50:51], v[50:51], v[60:61] neg_lo:[0,1] neg_hi:[0,1]
	s_delay_alu instid0(VALU_DEP_1) | instskip(NEXT) | instid1(VALU_DEP_1)
	v_pk_add_f32 v[48:49], v[48:49], v[50:51]
	v_mov_b32_e32 v56, v49
	s_delay_alu instid0(VALU_DEP_1) | instskip(NEXT) | instid1(VALU_DEP_1)
	v_pk_add_f32 v[56:57], v[48:49], v[56:57]
	v_pk_add_f32 v[52:53], v[52:53], v[56:57]
	s_delay_alu instid0(VALU_DEP_1) | instskip(NEXT) | instid1(VALU_DEP_1)
	v_dual_mov_b32 v51, v56 :: v_dual_mov_b32 v49, v52
	v_pk_add_f32 v[58:59], v[48:49], v[46:47] neg_lo:[0,1] neg_hi:[0,1]
	s_delay_alu instid0(VALU_DEP_1) | instskip(NEXT) | instid1(VALU_DEP_2)
	v_sub_f32_e32 v37, v48, v58
	v_pk_add_f32 v[48:49], v[50:51], v[58:59] neg_lo:[0,1] neg_hi:[0,1]
	s_delay_alu instid0(VALU_DEP_2) | instskip(NEXT) | instid1(VALU_DEP_1)
	v_sub_f32_e32 v37, v46, v37
	v_add_f32_e32 v37, v48, v37
	s_delay_alu instid0(VALU_DEP_1) | instskip(NEXT) | instid1(VALU_DEP_1)
	v_add_f32_e32 v37, v37, v49
	v_add_f32_e32 v37, v52, v37
	s_delay_alu instid0(VALU_DEP_1) | instskip(SKIP_1) | instid1(VALU_DEP_1)
	v_cndmask_b32_e64 v37, 0x7f800000, v37, s0
	v_cmp_gt_f32_e64 s0, 0x33800000, v55
	v_cndmask_b32_e64 v46, v37, v55, s0
.LBB8_8:
	s_or_b32 exec_lo, exec_lo, s1
	s_ashr_i32 s22, s22, 2
	s_delay_alu instid0(VALU_DEP_1)
	v_dual_mul_f32 v47, v46, v14 :: v_dual_mov_b32 v52, 0
	s_ashr_i32 s23, s22, 31
	v_dual_mul_f32 v53, v46, v15 :: v_dual_mul_f32 v55, v46, v16
	v_lshl_add_u64 v[44:45], s[22:23], 2, v[44:45]
	v_dual_mul_f32 v87, v46, v11 :: v_dual_mul_f32 v88, v46, v12
	v_dual_mul_f32 v91, v46, v7 :: v_dual_mul_f32 v92, v46, v8
	global_load_b32 v37, v[44:45], off
	v_dual_mul_f32 v93, v46, v9 :: v_dual_mul_f32 v94, v46, v2
	v_dual_mul_f32 v85, v46, v17 :: v_dual_mul_f32 v86, v46, v10
	;; [unrolled: 1-line block ×8, first 2 shown]
	ds_load_b128 v[48:51], v52
	ds_load_b128 v[56:59], v52 offset:16
	v_dual_mul_f32 v100, 0x3fb8aa3b, v85 :: v_dual_mul_f32 v101, 0x3fb8aa3b, v86
	v_dual_mul_f32 v104, 0x3fb8aa3b, v89 :: v_dual_mul_f32 v105, 0x3fb8aa3b, v90
	ds_load_b128 v[60:63], v52 offset:64
	ds_load_b128 v[64:67], v52 offset:80
	;; [unrolled: 1-line block ×6, first 2 shown]
	v_fma_f32 v52, 0x3fb8aa3b, v47, -v84
	v_rndne_f32_e32 v113, v84
	v_fma_f32 v114, 0x3fb8aa3b, v53, -v98
	v_rndne_f32_e32 v115, v98
	;; [unrolled: 2-line block ×4, first 2 shown]
	v_rndne_f32_e32 v133, v107
	v_rndne_f32_e32 v137, v109
	v_dual_mul_f32 v95, v46, v3 :: v_dual_mul_f32 v96, v46, v4
	v_fma_f32 v118, 0x3fb8aa3b, v85, -v100
	v_rndne_f32_e32 v119, v100
	v_rndne_f32_e32 v121, v101
	;; [unrolled: 1-line block ×3, first 2 shown]
	v_fma_f32 v126, 0x3fb8aa3b, v89, -v104
	v_rndne_f32_e32 v127, v104
	v_fma_f32 v130, 0x3fb8aa3b, v91, -v106
	v_rndne_f32_e32 v131, v106
	v_fma_f32 v132, 0x3fb8aa3b, v92, -v107
	v_fma_f32 v134, 0x3fb8aa3b, v93, -v108
	v_rndne_f32_e32 v135, v108
	v_fma_f32 v136, 0x3fb8aa3b, v94, -v109
	v_dual_fmac_f32 v52, 0x32a5705f, v47 :: v_dual_sub_f32 v99, v99, v117
	v_dual_sub_f32 v84, v84, v113 :: v_dual_sub_f32 v98, v98, v115
	v_fmac_f32_e32 v116, 0x32a5705f, v55
	v_dual_fmac_f32 v122, 0x32a5705f, v87 :: v_dual_sub_f32 v107, v107, v133
	v_dual_sub_f32 v102, v102, v123 :: v_dual_sub_f32 v109, v109, v137
	v_fmac_f32_e32 v114, 0x32a5705f, v53
	v_dual_mul_f32 v110, 0x3fb8aa3b, v95 :: v_dual_mul_f32 v111, 0x3fb8aa3b, v96
	v_fma_f32 v120, 0x3fb8aa3b, v86, -v101
	v_fma_f32 v124, 0x3fb8aa3b, v88, -v103
	v_dual_sub_f32 v100, v100, v119 :: v_dual_sub_f32 v103, v103, v125
	v_dual_sub_f32 v101, v101, v121 :: v_dual_sub_f32 v104, v104, v127
	v_dual_sub_f32 v106, v106, v131 :: v_dual_add_f32 v52, v84, v52
	v_fmac_f32_e32 v134, 0x32a5705f, v93
	v_dual_sub_f32 v108, v108, v135 :: v_dual_add_f32 v84, v98, v114
	v_add_f32_e32 v98, v99, v116
	v_fmac_f32_e32 v130, 0x32a5705f, v91
	v_fmac_f32_e32 v126, 0x32a5705f, v89
	;; [unrolled: 1-line block ×3, first 2 shown]
	v_mul_f32_e32 v112, 0x3fb8aa3b, v97
	v_rndne_f32_e32 v129, v105
	v_rndne_f32_e32 v139, v110
	;; [unrolled: 1-line block ×3, first 2 shown]
	v_fmac_f32_e32 v120, 0x32a5705f, v86
	v_dual_fmac_f32 v124, 0x32a5705f, v88 :: v_dual_add_f32 v99, v100, v118
	v_rndne_f32_e32 v143, v112
	v_fma_f32 v128, 0x3fb8aa3b, v90, -v105
	v_fma_f32 v138, 0x3fb8aa3b, v95, -v110
	;; [unrolled: 1-line block ×4, first 2 shown]
	v_dual_sub_f32 v105, v105, v129 :: v_dual_sub_f32 v110, v110, v139
	v_dual_add_f32 v100, v101, v120 :: v_dual_sub_f32 v111, v111, v141
	v_dual_sub_f32 v112, v112, v143 :: v_dual_add_f32 v101, v102, v122
	v_dual_add_f32 v102, v103, v124 :: v_dual_add_f32 v103, v104, v126
	v_exp_f32_e32 v84, v84
	v_cvt_i32_f32_e32 v115, v115
	v_exp_f32_e32 v99, v99
	v_cvt_i32_f32_e32 v119, v119
	;; [unrolled: 2-line block ×3, first 2 shown]
	v_cmp_ngt_f32_e64 s0, 0xc2ce8ed0, v53
	v_ldexp_f32 v84, v84, v115
	v_exp_f32_e32 v101, v101
	v_fmac_f32_e32 v128, 0x32a5705f, v90
	v_cvt_i32_f32_e32 v123, v123
	v_ldexp_f32 v99, v99, v119
	v_ldexp_f32 v103, v103, v127
	v_cndmask_b32_e64 v84, 0, v84, s0
	v_cmp_ngt_f32_e64 s0, 0xc2ce8ed0, v85
	v_fmac_f32_e32 v138, 0x32a5705f, v95
	v_fmac_f32_e32 v132, 0x32a5705f, v92
	v_add_f32_e32 v104, v105, v128
	v_ldexp_f32 v101, v101, v123
	v_cndmask_b32_e64 v99, 0, v99, s0
	v_cmp_ngt_f32_e64 s0, 0xc2ce8ed0, v87
	v_exp_f32_e32 v52, v52
	v_cvt_i32_f32_e32 v113, v113
	v_dual_add_f32 v105, v106, v130 :: v_dual_add_f32 v106, v107, v132
	s_delay_alu instid0(VALU_DEP_3)
	v_cndmask_b32_e64 v101, 0, v101, s0
	v_cmp_ngt_f32_e64 s0, 0xc2ce8ed0, v89
	v_exp_f32_e32 v98, v98
	v_cvt_i32_f32_e32 v117, v117
	v_ldexp_f32 v52, v52, v113
	v_exp_f32_e32 v100, v100
	v_cndmask_b32_e64 v103, 0, v103, s0
	v_cmp_ngt_f32_e64 s0, 0xc2ce8ed0, v47
	v_cvt_i32_f32_e32 v121, v121
	v_ldexp_f32 v98, v98, v117
	v_exp_f32_e32 v102, v102
	v_cvt_i32_f32_e32 v125, v125
	v_cndmask_b32_e64 v52, 0, v52, s0
	v_cmp_ngt_f32_e64 s0, 0xc2ce8ed0, v55
	v_ldexp_f32 v100, v100, v121
	v_exp_f32_e32 v104, v104
	v_cvt_i32_f32_e32 v129, v129
	v_ldexp_f32 v102, v102, v125
	v_cndmask_b32_e64 v98, 0, v98, s0
	v_cmp_ngt_f32_e64 s0, 0xc2ce8ed0, v86
	v_exp_f32_e32 v105, v105
	v_cvt_i32_f32_e32 v131, v131
	v_ldexp_f32 v104, v104, v129
	v_exp_f32_e32 v106, v106
	v_cndmask_b32_e64 v100, 0, v100, s0
	v_cmp_ngt_f32_e64 s0, 0xc2ce8ed0, v88
	v_cvt_i32_f32_e32 v133, v133
	v_ldexp_f32 v105, v105, v131
	v_add_f32_e32 v107, v108, v134
	v_cvt_i32_f32_e32 v135, v135
	v_cndmask_b32_e64 v102, 0, v102, s0
	v_cmp_ngt_f32_e64 s0, 0xc2ce8ed0, v90
	v_ldexp_f32 v106, v106, v133
	v_exp_f32_e32 v107, v107
	v_cvt_i32_f32_e32 v137, v137
	v_cvt_i32_f32_e32 v139, v139
	v_cndmask_b32_e64 v104, 0, v104, s0
	v_cmp_ngt_f32_e64 s0, 0xc2ce8ed0, v91
	v_cvt_i32_f32_e32 v141, v141
	v_cvt_i32_f32_e32 v143, v143
	v_ldexp_f32 v107, v107, v135
	s_mov_b32 s16, 0
	v_cndmask_b32_e64 v105, 0, v105, s0
	v_cmp_nlt_f32_e64 s0, 0x42b17218, v47
	s_mov_b32 s17, s6
	v_cndmask_b32_e64 v52, 0x7f800000, v52, s0
	v_cmp_nlt_f32_e64 s0, 0x42b17218, v53
	s_delay_alu instid0(VALU_DEP_1) | instskip(SKIP_2) | instid1(VALU_DEP_1)
	v_cndmask_b32_e64 v53, 0x7f800000, v84, s0
	v_cmp_ngt_f32_e64 s0, 0xc2ce8ed0, v92
	s_wait_loadcnt 0x0
	v_dual_mul_f32 v46, v46, v37 :: v_dual_cndmask_b32 v37, 0, v106, s0
	v_cmp_nlt_f32_e64 s0, 0x42b17218, v55
	s_wait_dscnt 0x7
	s_delay_alu instid0(VALU_DEP_2) | instskip(SKIP_1) | instid1(VALU_DEP_3)
	v_pk_mul_f32 v[48:49], v[46:47], v[48:49] op_sel_hi:[0,1]
	v_pk_mul_f32 v[50:51], v[46:47], v[50:51] op_sel_hi:[0,1]
	v_cndmask_b32_e64 v84, 0x7f800000, v98, s0
	v_cmp_nlt_f32_e64 s0, 0x42b17218, v85
	s_delay_alu instid0(VALU_DEP_4) | instskip(NEXT) | instid1(VALU_DEP_2)
	v_pk_fma_f32 v[42:43], v[42:43], v[52:53], v[48:49]
	v_cndmask_b32_e64 v85, 0x7f800000, v99, s0
	v_cmp_nlt_f32_e64 s0, 0x42b17218, v86
	s_wait_dscnt 0x5
	s_delay_alu instid0(VALU_DEP_3) | instskip(NEXT) | instid1(VALU_DEP_3)
	v_fma_f32 v47, v60, v42, 0
	v_pk_fma_f32 v[32:33], v[32:33], v[84:85], v[50:51]
	s_delay_alu instid0(VALU_DEP_3) | instskip(SKIP_1) | instid1(VALU_DEP_4)
	v_cndmask_b32_e64 v48, 0x7f800000, v100, s0
	v_cmp_nlt_f32_e64 s0, 0x42b17218, v87
	v_pk_mul_f32 v[52:53], v[46:47], v[56:57] op_sel_hi:[0,1]
	v_dual_fmac_f32 v47, v61, v43 :: v_dual_fmac_f32 v136, 0x32a5705f, v94
	s_delay_alu instid0(VALU_DEP_3) | instskip(SKIP_1) | instid1(VALU_DEP_3)
	v_cndmask_b32_e64 v49, 0x7f800000, v101, s0
	v_cmp_ngt_f32_e64 s0, 0xc2ce8ed0, v93
	v_fmac_f32_e32 v47, v62, v32
	s_delay_alu instid0(VALU_DEP_4) | instskip(NEXT) | instid1(VALU_DEP_4)
	v_add_f32_e32 v108, v109, v136
	v_pk_fma_f32 v[30:31], v[30:31], v[48:49], v[52:53]
	s_delay_alu instid0(VALU_DEP_4) | instskip(SKIP_1) | instid1(VALU_DEP_4)
	v_cndmask_b32_e64 v55, 0, v107, s0
	v_cmp_nlt_f32_e64 s0, 0x42b17218, v88
	v_exp_f32_e32 v108, v108
	v_pk_mul_f32 v[48:49], v[46:47], v[58:59] op_sel_hi:[0,1]
	s_wait_dscnt 0x4
	v_pk_mul_f32 v[52:53], v[64:65], v[30:31]
	v_fmac_f32_e32 v47, v63, v33
	v_cndmask_b32_e64 v50, 0x7f800000, v102, s0
	v_cmp_nlt_f32_e64 s0, 0x42b17218, v89
	v_fmac_f32_e32 v142, 0x32a5705f, v97
	v_ldexp_f32 v108, v108, v137
	v_dual_add_f32 v47, v47, v52 :: v_dual_add_f32 v109, v110, v138
	s_delay_alu instid0(VALU_DEP_4) | instskip(SKIP_2) | instid1(VALU_DEP_4)
	v_cndmask_b32_e64 v51, 0x7f800000, v103, s0
	v_cmp_ngt_f32_e64 s0, 0xc2ce8ed0, v94
	v_fmac_f32_e32 v140, 0x32a5705f, v96
	v_exp_f32_e32 v109, v109
	s_delay_alu instid0(VALU_DEP_3) | instskip(SKIP_3) | instid1(VALU_DEP_3)
	v_pk_fma_f32 v[26:27], v[26:27], v[50:51], v[48:49]
	s_wait_dscnt 0x3
	v_pk_mul_f32 v[48:49], v[46:47], v[68:69] op_sel_hi:[0,1]
	v_add_f32_e32 v47, v47, v53
	v_pk_mul_f32 v[50:51], v[66:67], v[26:27]
	v_cndmask_b32_e64 v58, 0, v108, s0
	v_cmp_nlt_f32_e64 s0, 0x42b17218, v90
	v_ldexp_f32 v109, v109, v139
	s_delay_alu instid0(VALU_DEP_2) | instskip(SKIP_1) | instid1(VALU_DEP_1)
	v_cndmask_b32_e64 v56, 0x7f800000, v104, s0
	v_cmp_nlt_f32_e64 s0, 0x42b17218, v91
	v_cndmask_b32_e64 v57, 0x7f800000, v105, s0
	v_cmp_ngt_f32_e64 s0, 0xc2ce8ed0, v95
	v_dual_add_f32 v110, v111, v140 :: v_dual_add_f32 v111, v112, v142
	s_delay_alu instid0(VALU_DEP_3) | instskip(NEXT) | instid1(VALU_DEP_3)
	v_pk_fma_f32 v[22:23], v[22:23], v[56:57], v[48:49]
	v_cndmask_b32_e64 v59, 0, v109, s0
	v_cmp_nlt_f32_e64 s0, 0x42b17218, v92
	s_delay_alu instid0(VALU_DEP_4)
	v_exp_f32_e32 v110, v110
	v_pk_mul_f32 v[48:49], v[46:47], v[70:71] op_sel_hi:[0,1]
	v_exp_f32_e32 v111, v111
	s_wait_dscnt 0x1
	v_pk_mul_f32 v[56:57], v[76:77], v[22:23]
	v_cndmask_b32_e64 v52, 0x7f800000, v37, s0
	v_cmp_nlt_f32_e64 s0, 0x42b17218, v93
	v_add_f32_e32 v37, v47, v50
	v_ldexp_f32 v110, v110, v141
	v_ldexp_f32 v111, v111, v143
	s_delay_alu instid0(VALU_DEP_4) | instskip(SKIP_2) | instid1(VALU_DEP_3)
	v_cndmask_b32_e64 v53, 0x7f800000, v55, s0
	v_cmp_ngt_f32_e64 s0, 0xc2ce8ed0, v96
	v_add_f32_e32 v37, v37, v51
	v_pk_fma_f32 v[24:25], v[24:25], v[52:53], v[48:49]
	s_delay_alu instid0(VALU_DEP_3) | instskip(SKIP_1) | instid1(VALU_DEP_3)
	v_cndmask_b32_e64 v47, 0, v110, s0
	v_cmp_nlt_f32_e64 s0, 0x42b17218, v94
	v_pk_mul_f32 v[52:53], v[78:79], v[24:25]
	s_delay_alu instid0(VALU_DEP_3) | instskip(NEXT) | instid1(VALU_DEP_3)
	v_pk_mul_f32 v[48:49], v[46:47], v[72:73] op_sel_hi:[0,1]
	v_cndmask_b32_e64 v50, 0x7f800000, v58, s0
	v_cmp_nlt_f32_e64 s0, 0x42b17218, v95
	s_delay_alu instid0(VALU_DEP_1) | instskip(SKIP_2) | instid1(VALU_DEP_3)
	v_cndmask_b32_e64 v51, 0x7f800000, v59, s0
	v_cmp_ngt_f32_e64 s0, 0xc2ce8ed0, v97
	v_add_f32_e32 v37, v37, v56
	v_pk_fma_f32 v[18:19], v[18:19], v[50:51], v[48:49]
	s_delay_alu instid0(VALU_DEP_2) | instskip(SKIP_2) | instid1(VALU_DEP_3)
	v_dual_cndmask_b32 v55, 0, v111, s0 :: v_dual_add_f32 v37, v37, v57
	v_cmp_nlt_f32_e64 s0, 0x42b17218, v96
	s_wait_dscnt 0x0
	v_pk_mul_f32 v[48:49], v[80:81], v[18:19]
	s_delay_alu instid0(VALU_DEP_3) | instskip(NEXT) | instid1(VALU_DEP_3)
	v_add_f32_e32 v37, v37, v52
	v_cndmask_b32_e64 v56, 0x7f800000, v47, s0
	v_cmp_nlt_f32_e64 s0, 0x42b17218, v97
	v_pk_mul_f32 v[46:47], v[46:47], v[74:75] op_sel_hi:[0,1]
	s_delay_alu instid0(VALU_DEP_4) | instskip(NEXT) | instid1(VALU_DEP_3)
	v_add_f32_e32 v37, v37, v53
	v_cndmask_b32_e64 v57, 0x7f800000, v55, s0
	s_ashr_i64 s[0:1], s[16:17], 30
	s_delay_alu instid0(VALU_DEP_2) | instskip(NEXT) | instid1(VALU_DEP_2)
	v_add_f32_e32 v37, v37, v48
	v_pk_fma_f32 v[20:21], v[20:21], v[56:57], v[46:47]
	s_delay_alu instid0(VALU_DEP_2) | instskip(SKIP_1) | instid1(VALU_DEP_3)
	v_add_f32_e32 v37, v37, v49
	v_add_nc_u64_e32 v[48:49], s[0:1], v[0:1]
	v_pk_mul_f32 v[46:47], v[82:83], v[20:21]
	s_delay_alu instid0(VALU_DEP_1) | instskip(NEXT) | instid1(VALU_DEP_1)
	v_add_f32_e32 v37, v37, v46
	v_add_f32_e32 v37, v37, v47
	global_store_b32 v[48:49], v37, off
	s_wait_storecnt 0x0
	s_barrier_signal -1
	s_barrier_wait -1
	s_wait_xcnt 0x0
	s_and_saveexec_b32 s0, vcc_lo
	s_cbranch_execz .LBB8_10
; %bb.9:
	v_lshl_add_u64 v[46:47], s[8:9], 3, v[40:41]
	v_lshl_add_u64 v[48:49], s[2:3], 3, v[38:39]
	global_load_b32 v37, v[46:47], off
	global_load_b32 v50, v[48:49], off
	s_wait_loadcnt 0x1
	ds_store_b32 v36, v37
	s_wait_loadcnt 0x0
	ds_store_b32 v54, v50
.LBB8_10:
	s_or_b32 exec_lo, exec_lo, s0
	s_lshl_b64 s[14:15], s[12:13], 2
	s_wait_dscnt 0x0
	v_add_nc_u64_e32 v[28:29], s[14:15], v[28:29]
	s_barrier_signal -1
	s_barrier_wait -1
	s_mov_b32 s1, exec_lo
	global_load_b32 v37, v[28:29], off
	s_wait_loadcnt 0x0
	v_cmpx_ge_f32_e32 0x41a00000, v37
	s_cbranch_execz .LBB8_12
; %bb.11:
	v_mul_f32_e32 v46, 0x3fb8aa3b, v37
	v_cmp_ngt_f32_e64 s0, 0xc2ce8ed0, v37
	s_delay_alu instid0(VALU_DEP_2) | instskip(SKIP_1) | instid1(VALU_DEP_2)
	v_rndne_f32_e32 v47, v46
	v_fma_f32 v48, 0x3fb8aa3b, v37, -v46
	v_sub_f32_e32 v46, v46, v47
	s_delay_alu instid0(VALU_DEP_2) | instskip(SKIP_1) | instid1(VALU_DEP_2)
	v_fmamk_f32 v48, v37, 0x32a5705f, v48
	v_cvt_i32_f32_e32 v47, v47
	v_add_f32_e32 v46, v46, v48
	s_delay_alu instid0(VALU_DEP_1) | instskip(SKIP_1) | instid1(TRANS32_DEP_1)
	v_exp_f32_e32 v46, v46
	v_nop
	v_ldexp_f32 v46, v46, v47
	s_delay_alu instid0(VALU_DEP_1) | instskip(SKIP_1) | instid1(VALU_DEP_1)
	v_cndmask_b32_e64 v46, 0, v46, s0
	v_cmp_nlt_f32_e64 s0, 0x42b17218, v37
	v_cndmask_b32_e64 v55, 0x7f800000, v46, s0
	s_delay_alu instid0(VALU_DEP_1) | instskip(NEXT) | instid1(VALU_DEP_1)
	v_add_f32_e32 v37, 1.0, v55
	v_cvt_f64_f32_e32 v[46:47], v37
	s_delay_alu instid0(VALU_DEP_1) | instskip(SKIP_1) | instid1(VALU_DEP_1)
	v_frexp_exp_i32_f64_e32 v46, v[46:47]
	v_frexp_mant_f32_e32 v47, v37
	v_cmp_gt_f32_e64 s0, 0x3f2aaaab, v47
	s_delay_alu instid0(VALU_DEP_1) | instskip(SKIP_2) | instid1(VALU_DEP_1)
	v_subrev_co_ci_u32_e64 v52, null, 0, v46, s0
	v_add_f32_e32 v46, -1.0, v37
	s_mov_b32 s0, 0x3e9b6dac
	v_dual_sub_f32 v48, v46, v37 :: v_dual_sub_nc_u32 v47, 0, v52
	s_delay_alu instid0(VALU_DEP_1) | instskip(NEXT) | instid1(VALU_DEP_1)
	v_ldexp_f32 v37, v37, v47
	v_dual_add_f32 v49, 1.0, v37 :: v_dual_add_f32 v51, -1.0, v37
	s_delay_alu instid0(VALU_DEP_3) | instskip(NEXT) | instid1(VALU_DEP_1)
	v_dual_sub_f32 v46, v55, v46 :: v_dual_add_f32 v48, 1.0, v48
	v_dual_add_f32 v46, v46, v48 :: v_dual_add_f32 v48, -1.0, v49
	s_delay_alu instid0(VALU_DEP_1) | instskip(NEXT) | instid1(VALU_DEP_2)
	v_ldexp_f32 v46, v46, v47
	v_sub_f32_e32 v47, v37, v48
	s_delay_alu instid0(VALU_DEP_1) | instskip(NEXT) | instid1(VALU_DEP_1)
	v_add_f32_e32 v50, v46, v47
	v_dual_add_f32 v48, 1.0, v51 :: v_dual_add_f32 v53, v49, v50
	s_delay_alu instid0(VALU_DEP_1) | instskip(NEXT) | instid1(VALU_DEP_2)
	v_sub_f32_e32 v37, v37, v48
	v_rcp_f32_e32 v56, v53
	s_delay_alu instid0(VALU_DEP_1) | instskip(SKIP_1) | instid1(VALU_DEP_1)
	v_add_f32_e32 v37, v46, v37
	v_sub_f32_e32 v46, v49, v53
	v_dual_add_f32 v47, v51, v37 :: v_dual_add_f32 v58, v50, v46
	s_delay_alu instid0(TRANS32_DEP_1) | instid1(VALU_DEP_1)
	v_mul_f32_e32 v57, v47, v56
	s_delay_alu instid0(VALU_DEP_1) | instskip(NEXT) | instid1(VALU_DEP_1)
	v_dual_sub_f32 v59, v51, v47 :: v_dual_mul_f32 v48, v53, v57
	v_add_f32_e32 v37, v37, v59
	s_delay_alu instid0(VALU_DEP_2) | instskip(NEXT) | instid1(VALU_DEP_1)
	v_fma_f32 v50, v57, v53, -v48
	v_fmac_f32_e32 v50, v57, v58
	s_delay_alu instid0(VALU_DEP_1) | instskip(NEXT) | instid1(VALU_DEP_1)
	v_add_f32_e32 v46, v48, v50
	v_dual_sub_f32 v49, v47, v46 :: v_dual_mov_b32 v51, v46
	s_delay_alu instid0(VALU_DEP_1) | instskip(NEXT) | instid1(VALU_DEP_1)
	v_pk_add_f32 v[46:47], v[46:47], v[48:49] neg_lo:[0,1] neg_hi:[0,1]
	v_pk_add_f32 v[46:47], v[46:47], v[50:51] neg_lo:[0,1] neg_hi:[0,1]
	s_delay_alu instid0(VALU_DEP_1) | instskip(NEXT) | instid1(VALU_DEP_1)
	v_add_f32_e32 v37, v37, v47
	v_add_f32_e32 v37, v46, v37
	s_delay_alu instid0(VALU_DEP_1) | instskip(NEXT) | instid1(VALU_DEP_1)
	v_add_f32_e32 v47, v49, v37
	v_mul_f32_e32 v59, v56, v47
	s_delay_alu instid0(VALU_DEP_1) | instskip(NEXT) | instid1(VALU_DEP_1)
	v_mul_f32_e32 v50, v53, v59
	v_fma_f32 v48, v59, v53, -v50
	s_delay_alu instid0(VALU_DEP_1) | instskip(NEXT) | instid1(VALU_DEP_1)
	v_dual_fmac_f32 v48, v59, v58 :: v_dual_sub_f32 v53, v49, v47
	v_dual_add_f32 v46, v50, v48 :: v_dual_add_f32 v37, v37, v53
	s_delay_alu instid0(VALU_DEP_1) | instskip(NEXT) | instid1(VALU_DEP_1)
	v_dual_sub_f32 v51, v47, v46 :: v_dual_mov_b32 v49, v46
	v_pk_add_f32 v[46:47], v[46:47], v[50:51] neg_lo:[0,1] neg_hi:[0,1]
	s_delay_alu instid0(VALU_DEP_1) | instskip(SKIP_1) | instid1(VALU_DEP_2)
	v_pk_add_f32 v[46:47], v[46:47], v[48:49] neg_lo:[0,1] neg_hi:[0,1]
	v_cvt_f32_i32_e32 v48, v52
	v_add_f32_e32 v37, v37, v47
	s_delay_alu instid0(VALU_DEP_1) | instskip(NEXT) | instid1(VALU_DEP_1)
	v_dual_add_f32 v50, v57, v59 :: v_dual_add_f32 v37, v46, v37
	v_sub_f32_e32 v46, v50, v57
	s_delay_alu instid0(VALU_DEP_2) | instskip(NEXT) | instid1(VALU_DEP_1)
	v_add_f32_e32 v37, v51, v37
	v_dual_sub_f32 v46, v59, v46 :: v_dual_mul_f32 v37, v56, v37
	s_delay_alu instid0(VALU_DEP_1) | instskip(NEXT) | instid1(VALU_DEP_1)
	v_dual_add_f32 v37, v46, v37 :: v_dual_mov_b32 v46, 0x3f317218
	v_add_f32_e32 v51, v50, v37
	s_delay_alu instid0(VALU_DEP_1) | instskip(NEXT) | instid1(VALU_DEP_1)
	v_mul_f32_e32 v47, v51, v51
	v_fmaak_f32 v53, s0, v47, 0x3ecc95a3
	v_mul_f32_e32 v49, v51, v47
	v_cmp_neq_f32_e64 s0, 0x7f800000, v55
	s_delay_alu instid0(VALU_DEP_3) | instskip(NEXT) | instid1(VALU_DEP_1)
	v_fmaak_f32 v47, v47, v53, 0x3f2aaada
	v_pk_mul_f32 v[46:47], v[48:49], v[46:47]
	s_delay_alu instid0(VALU_DEP_1) | instskip(NEXT) | instid1(VALU_DEP_1)
	v_fma_f32 v52, 0x3f317218, v48, -v46
	v_fmamk_f32 v48, v48, 0xb102e308, v52
	v_ldexp_f32 v49, v51, 1
	v_sub_f32_e32 v52, v51, v50
	s_delay_alu instid0(VALU_DEP_2) | instskip(NEXT) | instid1(VALU_DEP_2)
	v_pk_add_f32 v[50:51], v[46:47], v[48:49]
	v_dual_sub_f32 v37, v37, v52 :: v_dual_mov_b32 v52, v46
	s_delay_alu instid0(VALU_DEP_2) | instskip(NEXT) | instid1(VALU_DEP_2)
	v_sub_f32_e32 v49, v51, v49
	v_ldexp_f32 v37, v37, 1
	v_mov_b32_e32 v62, v51
	s_delay_alu instid0(VALU_DEP_3) | instskip(SKIP_1) | instid1(VALU_DEP_2)
	v_sub_f32_e32 v49, v47, v49
	v_pk_add_f32 v[46:47], v[50:51], v[46:47] neg_lo:[0,1] neg_hi:[0,1]
	v_dual_add_f32 v53, v37, v49 :: v_dual_mov_b32 v49, v50
	s_delay_alu instid0(VALU_DEP_1) | instskip(NEXT) | instid1(VALU_DEP_1)
	v_pk_add_f32 v[56:57], v[50:51], v[52:53]
	v_mov_b32_e32 v47, v57
	s_delay_alu instid0(VALU_DEP_1) | instskip(SKIP_1) | instid1(VALU_DEP_2)
	v_pk_add_f32 v[58:59], v[48:49], v[46:47]
	v_pk_add_f32 v[46:47], v[48:49], v[46:47] neg_lo:[0,1] neg_hi:[0,1]
	v_dual_mov_b32 v52, v59 :: v_dual_mov_b32 v47, v59
	s_delay_alu instid0(VALU_DEP_1) | instskip(SKIP_1) | instid1(VALU_DEP_2)
	v_pk_add_f32 v[60:61], v[52:53], v[50:51] neg_lo:[0,1] neg_hi:[0,1]
	v_dual_mov_b32 v58, v57 :: v_dual_mov_b32 v51, v50
	v_dual_mov_b32 v50, v53 :: v_dual_mov_b32 v63, v60
	v_mov_b32_e32 v37, v60
	s_delay_alu instid0(VALU_DEP_2) | instskip(NEXT) | instid1(VALU_DEP_2)
	v_pk_add_f32 v[60:61], v[58:59], v[62:63] neg_lo:[0,1] neg_hi:[0,1]
	v_pk_add_f32 v[48:49], v[56:57], v[36:37] neg_lo:[0,1] neg_hi:[0,1]
	v_mov_b32_e32 v48, v46
	s_delay_alu instid0(VALU_DEP_3) | instskip(NEXT) | instid1(VALU_DEP_1)
	v_pk_add_f32 v[50:51], v[50:51], v[60:61] neg_lo:[0,1] neg_hi:[0,1]
	v_pk_add_f32 v[48:49], v[48:49], v[50:51]
	s_delay_alu instid0(VALU_DEP_1) | instskip(NEXT) | instid1(VALU_DEP_1)
	v_mov_b32_e32 v56, v49
	v_pk_add_f32 v[56:57], v[48:49], v[56:57]
	s_delay_alu instid0(VALU_DEP_1) | instskip(NEXT) | instid1(VALU_DEP_1)
	v_pk_add_f32 v[52:53], v[52:53], v[56:57]
	v_dual_mov_b32 v51, v56 :: v_dual_mov_b32 v49, v52
	s_delay_alu instid0(VALU_DEP_1) | instskip(NEXT) | instid1(VALU_DEP_1)
	v_pk_add_f32 v[58:59], v[48:49], v[46:47] neg_lo:[0,1] neg_hi:[0,1]
	v_sub_f32_e32 v37, v48, v58
	s_delay_alu instid0(VALU_DEP_2) | instskip(NEXT) | instid1(VALU_DEP_2)
	v_pk_add_f32 v[48:49], v[50:51], v[58:59] neg_lo:[0,1] neg_hi:[0,1]
	v_sub_f32_e32 v37, v46, v37
	s_delay_alu instid0(VALU_DEP_1) | instskip(NEXT) | instid1(VALU_DEP_1)
	v_add_f32_e32 v37, v48, v37
	v_add_f32_e32 v37, v37, v49
	s_delay_alu instid0(VALU_DEP_1) | instskip(NEXT) | instid1(VALU_DEP_1)
	v_add_f32_e32 v37, v52, v37
	v_cndmask_b32_e64 v37, 0x7f800000, v37, s0
	v_cmp_gt_f32_e64 s0, 0x33800000, v55
	s_delay_alu instid0(VALU_DEP_1)
	v_cndmask_b32_e64 v37, v37, v55, s0
.LBB8_12:
	s_or_b32 exec_lo, exec_lo, s1
	s_lshl_b64 s[12:13], s[22:23], 2
	s_delay_alu instid0(VALU_DEP_1)
	v_dual_mul_f32 v81, v37, v14 :: v_dual_mov_b32 v76, 0
	v_add_nc_u64_e32 v[44:45], s[12:13], v[44:45]
	v_dual_mul_f32 v83, v37, v15 :: v_dual_mul_f32 v84, v37, v16
	v_dual_mul_f32 v85, v37, v17 :: v_dual_mul_f32 v86, v37, v10
	;; [unrolled: 1-line block ×3, first 2 shown]
	global_load_b32 v55, v[44:45], off
	v_dual_mul_f32 v89, v37, v13 :: v_dual_mul_f32 v90, v37, v6
	v_dual_mul_f32 v93, v37, v9 :: v_dual_mul_f32 v94, v37, v2
	;; [unrolled: 1-line block ×6, first 2 shown]
	s_delay_alu instid0(VALU_DEP_3)
	v_dual_mul_f32 v102, 0x3fb8aa3b, v88 :: v_dual_mul_f32 v105, 0x3fb8aa3b, v91
	v_dual_mul_f32 v104, 0x3fb8aa3b, v90 :: v_dual_mul_f32 v107, 0x3fb8aa3b, v93
	v_fma_f32 v112, 0x3fb8aa3b, v81, -v80
	v_rndne_f32_e32 v113, v80
	v_dual_mul_f32 v95, v37, v3 :: v_dual_mul_f32 v96, v37, v4
	v_fma_f32 v114, 0x3fb8aa3b, v83, -v82
	v_rndne_f32_e32 v115, v82
	v_fma_f32 v118, 0x3fb8aa3b, v85, -v99
	v_rndne_f32_e32 v119, v99
	v_rndne_f32_e32 v123, v101
	;; [unrolled: 1-line block ×4, first 2 shown]
	v_fmac_f32_e32 v112, 0x32a5705f, v81
	v_dual_sub_f32 v80, v80, v113 :: v_dual_sub_f32 v82, v82, v115
	v_dual_mul_f32 v100, 0x3fb8aa3b, v86 :: v_dual_mul_f32 v103, 0x3fb8aa3b, v89
	v_dual_mul_f32 v108, 0x3fb8aa3b, v94 :: v_dual_mul_f32 v111, 0x3fb8aa3b, v97
	v_dual_mul_f32 v110, 0x3fb8aa3b, v96 :: v_dual_sub_f32 v99, v99, v119
	v_fma_f32 v116, 0x3fb8aa3b, v84, -v98
	v_rndne_f32_e32 v117, v98
	v_fma_f32 v122, 0x3fb8aa3b, v87, -v101
	v_fma_f32 v124, 0x3fb8aa3b, v88, -v102
	v_rndne_f32_e32 v129, v104
	v_fma_f32 v134, 0x3fb8aa3b, v93, -v107
	v_dual_fmac_f32 v118, 0x32a5705f, v85 :: v_dual_sub_f32 v107, v107, v135
	v_fmac_f32_e32 v114, 0x32a5705f, v83
	v_dual_sub_f32 v101, v101, v123 :: v_dual_sub_f32 v102, v102, v125
	v_add_f32_e32 v80, v80, v112
	v_rndne_f32_e32 v121, v100
	v_fma_f32 v142, 0x3fb8aa3b, v97, -v111
	v_rndne_f32_e32 v143, v111
	v_rndne_f32_e32 v127, v103
	v_fma_f32 v128, 0x3fb8aa3b, v90, -v104
	v_rndne_f32_e32 v131, v105
	v_rndne_f32_e32 v137, v108
	v_fmac_f32_e32 v116, 0x32a5705f, v84
	v_dual_sub_f32 v98, v98, v117 :: v_dual_add_f32 v99, v99, v118
	v_dual_sub_f32 v104, v104, v129 :: v_dual_add_f32 v82, v82, v114
	v_exp_f32_e32 v80, v80
	v_fma_f32 v120, 0x3fb8aa3b, v86, -v100
	v_fma_f32 v126, 0x3fb8aa3b, v89, -v103
	;; [unrolled: 1-line block ×3, first 2 shown]
	v_dual_sub_f32 v100, v100, v121 :: v_dual_sub_f32 v111, v111, v143
	v_cvt_i32_f32_e32 v113, v113
	v_fmac_f32_e32 v142, 0x32a5705f, v97
	v_fmac_f32_e32 v134, 0x32a5705f, v93
	v_dual_mul_f32 v106, 0x3fb8aa3b, v92 :: v_dual_mul_f32 v109, 0x3fb8aa3b, v95
	v_fma_f32 v136, 0x3fb8aa3b, v94, -v108
	v_sub_f32_e32 v103, v103, v127
	v_dual_sub_f32 v105, v105, v131 :: v_dual_sub_f32 v108, v108, v137
	v_add_f32_e32 v98, v98, v116
	v_exp_f32_e32 v82, v82
	v_exp_f32_e32 v99, v99
	v_cvt_i32_f32_e32 v115, v115
	v_cvt_i32_f32_e32 v119, v119
	v_dual_add_f32 v111, v111, v142 :: v_dual_fmac_f32 v130, 0x32a5705f, v91
	v_dual_add_f32 v107, v107, v134 :: v_dual_fmac_f32 v126, 0x32a5705f, v89
	v_ldexp_f32 v80, v80, v113
	v_cmp_ngt_f32_e64 s0, 0xc2ce8ed0, v81
	v_rndne_f32_e32 v133, v106
	v_rndne_f32_e32 v139, v109
	v_fmac_f32_e32 v120, 0x32a5705f, v86
	v_exp_f32_e32 v98, v98
	v_fma_f32 v132, 0x3fb8aa3b, v92, -v106
	v_fma_f32 v138, 0x3fb8aa3b, v95, -v109
	v_cvt_i32_f32_e32 v117, v117
	v_dual_add_f32 v105, v105, v130 :: v_dual_fmac_f32 v122, 0x32a5705f, v87
	v_dual_add_f32 v103, v103, v126 :: v_dual_fmac_f32 v124, 0x32a5705f, v88
	v_ldexp_f32 v82, v82, v115
	v_ldexp_f32 v99, v99, v119
	v_cndmask_b32_e64 v112, 0, v80, s0
	v_cmp_ngt_f32_e64 s0, 0xc2ce8ed0, v83
	v_dual_sub_f32 v109, v109, v139 :: v_dual_sub_f32 v106, v106, v133
	v_add_f32_e32 v100, v100, v120
	ds_load_b128 v[46:49], v76
	ds_load_b128 v[50:53], v76 offset:16
	ds_load_b128 v[56:59], v76 offset:32
	;; [unrolled: 1-line block ×7, first 2 shown]
	v_fmac_f32_e32 v138, 0x32a5705f, v95
	v_dual_fmac_f32 v132, 0x32a5705f, v92 :: v_dual_add_f32 v101, v101, v122
	v_dual_add_f32 v102, v102, v124 :: v_dual_cndmask_b32 v113, 0, v82, s0
	v_ldexp_f32 v98, v98, v117
	v_cmp_ngt_f32_e64 s0, 0xc2ce8ed0, v84
	v_exp_f32_e32 v100, v100
	v_cvt_i32_f32_e32 v121, v121
	v_dual_add_f32 v109, v109, v138 :: v_dual_add_f32 v106, v106, v132
	s_delay_alu instid0(VALU_DEP_3)
	v_cndmask_b32_e64 v98, 0, v98, s0
	v_cmp_ngt_f32_e64 s0, 0xc2ce8ed0, v85
	v_exp_f32_e32 v101, v101
	v_cvt_i32_f32_e32 v123, v123
	v_ldexp_f32 v100, v100, v121
	v_rndne_f32_e32 v141, v110
	v_cndmask_b32_e64 v99, 0, v99, s0
	v_cmp_ngt_f32_e64 s0, 0xc2ce8ed0, v86
	v_fmac_f32_e32 v128, 0x32a5705f, v90
	v_exp_f32_e32 v102, v102
	v_cvt_i32_f32_e32 v125, v125
	v_ldexp_f32 v101, v101, v123
	v_cndmask_b32_e64 v100, 0, v100, s0
	v_cmp_ngt_f32_e64 s0, 0xc2ce8ed0, v87
	v_fma_f32 v140, 0x3fb8aa3b, v96, -v110
	v_dual_sub_f32 v110, v110, v141 :: v_dual_add_f32 v104, v104, v128
	v_exp_f32_e32 v103, v103
	v_cvt_i32_f32_e32 v127, v127
	v_ldexp_f32 v102, v102, v125
	v_cndmask_b32_e64 v101, 0, v101, s0
	v_cmp_ngt_f32_e64 s0, 0xc2ce8ed0, v88
	v_exp_f32_e32 v104, v104
	v_cvt_i32_f32_e32 v129, v129
	v_ldexp_f32 v103, v103, v127
	v_exp_f32_e32 v105, v105
	v_cndmask_b32_e64 v102, 0, v102, s0
	v_cmp_ngt_f32_e64 s0, 0xc2ce8ed0, v89
	v_cvt_i32_f32_e32 v131, v131
	v_ldexp_f32 v104, v104, v129
	v_exp_f32_e32 v106, v106
	v_cvt_i32_f32_e32 v133, v133
	v_cndmask_b32_e64 v103, 0, v103, s0
	v_cmp_ngt_f32_e64 s0, 0xc2ce8ed0, v90
	v_ldexp_f32 v105, v105, v131
	v_exp_f32_e32 v107, v107
	v_cvt_i32_f32_e32 v135, v135
	v_ldexp_f32 v106, v106, v133
	v_cndmask_b32_e64 v104, 0, v104, s0
	v_cmp_ngt_f32_e64 s0, 0xc2ce8ed0, v91
	v_cvt_i32_f32_e32 v137, v137
	v_exp_f32_e32 v109, v109
	v_ldexp_f32 v107, v107, v135
	v_cvt_i32_f32_e32 v139, v139
	v_cndmask_b32_e64 v105, 0, v105, s0
	v_cmp_nlt_f32_e64 s0, 0x42b17218, v81
	v_cvt_i32_f32_e32 v141, v141
	v_exp_f32_e32 v111, v111
	v_ldexp_f32 v109, v109, v139
	v_cvt_i32_f32_e32 v143, v143
	v_cndmask_b32_e64 v82, 0x7f800000, v112, s0
	v_cmp_nlt_f32_e64 s0, 0x42b17218, v83
	s_delay_alu instid0(TRANS32_DEP_1) | instid1(VALU_DEP_3)
	v_ldexp_f32 v111, v111, v143
	s_delay_alu instid0(VALU_DEP_2) | instskip(SKIP_2) | instid1(VALU_DEP_1)
	v_cndmask_b32_e64 v83, 0x7f800000, v113, s0
	v_cmp_ngt_f32_e64 s0, 0xc2ce8ed0, v92
	s_wait_loadcnt 0x0
	v_dual_mul_f32 v80, v37, v55 :: v_dual_cndmask_b32 v37, 0, v106, s0
	v_cmp_nlt_f32_e64 s0, 0x42b17218, v84
	s_wait_dscnt 0x7
	s_delay_alu instid0(VALU_DEP_2) | instskip(SKIP_1) | instid1(VALU_DEP_3)
	v_pk_mul_f32 v[46:47], v[80:81], v[46:47] op_sel_hi:[0,1]
	v_pk_mul_f32 v[48:49], v[80:81], v[48:49] op_sel_hi:[0,1]
	v_cndmask_b32_e64 v84, 0x7f800000, v98, s0
	v_cmp_nlt_f32_e64 s0, 0x42b17218, v85
	s_wait_dscnt 0x6
	v_pk_mul_f32 v[50:51], v[80:81], v[50:51] op_sel_hi:[0,1]
	v_pk_fma_f32 v[42:43], v[42:43], v[82:83], v[46:47]
	s_delay_alu instid0(VALU_DEP_3) | instskip(SKIP_2) | instid1(VALU_DEP_3)
	v_cndmask_b32_e64 v85, 0x7f800000, v99, s0
	v_cmp_nlt_f32_e64 s0, 0x42b17218, v86
	s_wait_dscnt 0x3
	v_fma_f32 v55, v64, v42, 0
	s_delay_alu instid0(VALU_DEP_3) | instskip(NEXT) | instid1(VALU_DEP_3)
	v_pk_fma_f32 v[32:33], v[32:33], v[84:85], v[48:49]
	v_cndmask_b32_e64 v46, 0x7f800000, v100, s0
	v_cmp_nlt_f32_e64 s0, 0x42b17218, v87
	s_delay_alu instid0(VALU_DEP_4) | instskip(NEXT) | instid1(VALU_DEP_2)
	v_dual_fmac_f32 v55, v65, v43 :: v_dual_fmac_f32 v136, 0x32a5705f, v94
	v_cndmask_b32_e64 v47, 0x7f800000, v101, s0
	v_cmp_ngt_f32_e64 s0, 0xc2ce8ed0, v93
	s_delay_alu instid0(VALU_DEP_3) | instskip(NEXT) | instid1(VALU_DEP_4)
	v_fmac_f32_e32 v55, v66, v32
	v_add_f32_e32 v108, v108, v136
	s_delay_alu instid0(VALU_DEP_4) | instskip(NEXT) | instid1(VALU_DEP_4)
	v_pk_fma_f32 v[30:31], v[30:31], v[46:47], v[50:51]
	v_cndmask_b32_e64 v64, 0, v107, s0
	v_cmp_nlt_f32_e64 s0, 0x42b17218, v88
	s_delay_alu instid0(VALU_DEP_4)
	v_exp_f32_e32 v108, v108
	v_fmac_f32_e32 v55, v67, v33
	s_wait_dscnt 0x2
	v_pk_mul_f32 v[50:51], v[68:69], v[30:31]
	v_pk_mul_f32 v[46:47], v[80:81], v[52:53] op_sel_hi:[0,1]
	v_cndmask_b32_e64 v48, 0x7f800000, v102, s0
	v_cmp_nlt_f32_e64 s0, 0x42b17218, v89
	v_ldexp_f32 v108, v108, v137
	v_add_f32_e32 v50, v55, v50
	v_fmac_f32_e32 v140, 0x32a5705f, v96
	s_delay_alu instid0(VALU_DEP_4) | instskip(SKIP_1) | instid1(VALU_DEP_4)
	v_cndmask_b32_e64 v49, 0x7f800000, v103, s0
	v_cmp_ngt_f32_e64 s0, 0xc2ce8ed0, v94
	v_add_f32_e32 v51, v50, v51
	s_delay_alu instid0(VALU_DEP_3) | instskip(NEXT) | instid1(VALU_DEP_3)
	v_pk_fma_f32 v[46:47], v[26:27], v[48:49], v[46:47]
	v_cndmask_b32_e64 v65, 0, v108, s0
	v_cmp_nlt_f32_e64 s0, 0x42b17218, v90
	v_pk_mul_f32 v[26:27], v[80:81], v[56:57] op_sel_hi:[0,1]
	s_delay_alu instid0(VALU_DEP_4) | instskip(NEXT) | instid1(VALU_DEP_3)
	v_pk_mul_f32 v[48:49], v[70:71], v[46:47]
	v_cndmask_b32_e64 v52, 0x7f800000, v104, s0
	v_cmp_nlt_f32_e64 s0, 0x42b17218, v91
	s_delay_alu instid0(VALU_DEP_1) | instskip(SKIP_2) | instid1(VALU_DEP_3)
	v_cndmask_b32_e64 v53, 0x7f800000, v105, s0
	v_cmp_ngt_f32_e64 s0, 0xc2ce8ed0, v95
	v_add_f32_e32 v110, v110, v140
	v_pk_fma_f32 v[22:23], v[22:23], v[52:53], v[26:27]
	s_delay_alu instid0(VALU_DEP_3) | instskip(SKIP_1) | instid1(VALU_DEP_4)
	v_cndmask_b32_e64 v55, 0, v109, s0
	v_cmp_nlt_f32_e64 s0, 0x42b17218, v92
	v_exp_f32_e32 v110, v110
	v_pk_mul_f32 v[26:27], v[80:81], v[58:59] op_sel_hi:[0,1]
	s_wait_dscnt 0x1
	v_pk_mul_f32 v[52:53], v[72:73], v[22:23]
	v_cndmask_b32_e64 v50, 0x7f800000, v37, s0
	v_cmp_nlt_f32_e64 s0, 0x42b17218, v93
	v_add_f32_e32 v37, v51, v48
	v_ldexp_f32 v110, v110, v141
	s_delay_alu instid0(VALU_DEP_3) | instskip(SKIP_1) | instid1(VALU_DEP_4)
	v_cndmask_b32_e64 v51, 0x7f800000, v64, s0
	v_cmp_ngt_f32_e64 s0, 0xc2ce8ed0, v96
	v_add_f32_e32 v37, v37, v49
	s_delay_alu instid0(VALU_DEP_3) | instskip(NEXT) | instid1(VALU_DEP_3)
	v_pk_fma_f32 v[24:25], v[24:25], v[50:51], v[26:27]
	v_cndmask_b32_e64 v56, 0, v110, s0
	v_cmp_nlt_f32_e64 s0, 0x42b17218, v94
	v_pk_mul_f32 v[26:27], v[80:81], v[60:61] op_sel_hi:[0,1]
	s_delay_alu instid0(VALU_DEP_4) | instskip(NEXT) | instid1(VALU_DEP_3)
	v_pk_mul_f32 v[50:51], v[74:75], v[24:25]
	v_cndmask_b32_e64 v48, 0x7f800000, v65, s0
	v_cmp_nlt_f32_e64 s0, 0x42b17218, v95
	s_delay_alu instid0(VALU_DEP_1) | instskip(SKIP_2) | instid1(VALU_DEP_3)
	v_cndmask_b32_e64 v49, 0x7f800000, v55, s0
	v_cmp_ngt_f32_e64 s0, 0xc2ce8ed0, v97
	v_add_f32_e32 v37, v37, v52
	v_pk_fma_f32 v[18:19], v[18:19], v[48:49], v[26:27]
	v_pk_mul_f32 v[26:27], v[80:81], v[62:63] op_sel_hi:[0,1]
	s_delay_alu instid0(VALU_DEP_3) | instskip(SKIP_3) | instid1(VALU_DEP_3)
	v_dual_add_f32 v37, v37, v53 :: v_dual_cndmask_b32 v53, 0, v111, s0
	v_cmp_nlt_f32_e64 s0, 0x42b17218, v96
	s_wait_dscnt 0x0
	v_pk_mul_f32 v[48:49], v[76:77], v[18:19]
	v_add_f32_e32 v37, v37, v50
	s_delay_alu instid0(VALU_DEP_3) | instskip(SKIP_1) | instid1(VALU_DEP_3)
	v_cndmask_b32_e64 v52, 0x7f800000, v56, s0
	v_cmp_nlt_f32_e64 s0, 0x42b17218, v97
	v_add_f32_e32 v37, v37, v51
	s_delay_alu instid0(VALU_DEP_2) | instskip(SKIP_1) | instid1(VALU_DEP_2)
	v_cndmask_b32_e64 v53, 0x7f800000, v53, s0
	s_ashr_i64 s[0:1], s[16:17], 29
	v_add_f32_e32 v37, v37, v48
	s_delay_alu instid0(VALU_DEP_2) | instskip(NEXT) | instid1(VALU_DEP_2)
	v_pk_fma_f32 v[20:21], v[20:21], v[52:53], v[26:27]
	v_add_f32_e32 v37, v37, v49
	v_add_nc_u64_e32 v[48:49], s[0:1], v[0:1]
	s_delay_alu instid0(VALU_DEP_3) | instskip(NEXT) | instid1(VALU_DEP_1)
	v_pk_mul_f32 v[26:27], v[78:79], v[20:21]
	v_add_f32_e32 v26, v37, v26
	s_delay_alu instid0(VALU_DEP_1)
	v_add_f32_e32 v26, v26, v27
	global_store_b32 v[48:49], v26, off
	s_wait_storecnt 0x0
	s_barrier_signal -1
	s_barrier_wait -1
	s_wait_xcnt 0x0
	s_and_saveexec_b32 s0, vcc_lo
	s_cbranch_execz .LBB8_14
; %bb.13:
	v_mad_nc_i64_i32 v[26:27], s8, 12, v[40:41]
	v_mad_nc_i64_i32 v[48:49], s2, 12, v[38:39]
	global_load_b32 v37, v[26:27], off
	global_load_b32 v50, v[48:49], off
	s_wait_loadcnt 0x1
	ds_store_b32 v36, v37
	s_wait_loadcnt 0x0
	ds_store_b32 v54, v50
.LBB8_14:
	s_or_b32 exec_lo, exec_lo, s0
	v_add_nc_u64_e32 v[48:49], s[14:15], v[28:29]
	s_wait_dscnt 0x0
	s_barrier_signal -1
	s_barrier_wait -1
	s_bfe_i64 s[6:7], s[6:7], 0x200000
	s_mov_b32 s1, exec_lo
	global_load_b32 v26, v[48:49], off
	s_wait_loadcnt 0x0
	v_cmpx_ge_f32_e32 0x41a00000, v26
	s_cbranch_execz .LBB8_16
; %bb.15:
	v_mul_f32_e32 v27, 0x3fb8aa3b, v26
	v_cmp_ngt_f32_e64 s0, 0xc2ce8ed0, v26
	s_delay_alu instid0(VALU_DEP_2) | instskip(SKIP_1) | instid1(VALU_DEP_2)
	v_rndne_f32_e32 v28, v27
	v_fma_f32 v29, 0x3fb8aa3b, v26, -v27
	v_sub_f32_e32 v27, v27, v28
	s_delay_alu instid0(VALU_DEP_2) | instskip(SKIP_1) | instid1(VALU_DEP_2)
	v_fmamk_f32 v29, v26, 0x32a5705f, v29
	v_cvt_i32_f32_e32 v28, v28
	v_add_f32_e32 v27, v27, v29
	s_delay_alu instid0(VALU_DEP_1) | instskip(SKIP_1) | instid1(TRANS32_DEP_1)
	v_exp_f32_e32 v27, v27
	v_nop
	v_ldexp_f32 v27, v27, v28
	s_delay_alu instid0(VALU_DEP_1) | instskip(SKIP_1) | instid1(VALU_DEP_1)
	v_cndmask_b32_e64 v27, 0, v27, s0
	v_cmp_nlt_f32_e64 s0, 0x42b17218, v26
	v_cndmask_b32_e64 v55, 0x7f800000, v27, s0
	s_delay_alu instid0(VALU_DEP_1) | instskip(NEXT) | instid1(VALU_DEP_1)
	v_add_f32_e32 v28, 1.0, v55
	v_cvt_f64_f32_e32 v[26:27], v28
	s_delay_alu instid0(VALU_DEP_1) | instskip(SKIP_1) | instid1(VALU_DEP_1)
	v_frexp_exp_i32_f64_e32 v26, v[26:27]
	v_frexp_mant_f32_e32 v27, v28
	v_cmp_gt_f32_e64 s0, 0x3f2aaaab, v27
	s_delay_alu instid0(VALU_DEP_1) | instskip(SKIP_2) | instid1(VALU_DEP_1)
	v_subrev_co_ci_u32_e64 v37, null, 0, v26, s0
	v_add_f32_e32 v26, -1.0, v28
	s_mov_b32 s0, 0x3e9b6dac
	v_dual_sub_nc_u32 v27, 0, v37 :: v_dual_sub_f32 v29, v26, v28
	v_sub_f32_e32 v26, v55, v26
	s_delay_alu instid0(VALU_DEP_2) | instskip(NEXT) | instid1(VALU_DEP_1)
	v_ldexp_f32 v28, v28, v27
	v_dual_add_f32 v29, 1.0, v29 :: v_dual_add_f32 v50, 1.0, v28
	s_delay_alu instid0(VALU_DEP_1) | instskip(SKIP_1) | instid1(VALU_DEP_2)
	v_dual_add_f32 v26, v26, v29 :: v_dual_add_f32 v29, -1.0, v50
	v_add_f32_e32 v51, -1.0, v28
	v_ldexp_f32 v26, v26, v27
	s_delay_alu instid0(VALU_DEP_3) | instskip(NEXT) | instid1(VALU_DEP_1)
	v_sub_f32_e32 v27, v28, v29
	v_add_f32_e32 v52, v26, v27
	s_delay_alu instid0(VALU_DEP_1) | instskip(NEXT) | instid1(VALU_DEP_1)
	v_dual_add_f32 v29, 1.0, v51 :: v_dual_add_f32 v53, v50, v52
	v_sub_f32_e32 v27, v28, v29
	s_delay_alu instid0(VALU_DEP_2) | instskip(NEXT) | instid1(VALU_DEP_1)
	v_rcp_f32_e32 v57, v53
	v_add_f32_e32 v56, v26, v27
	s_delay_alu instid0(VALU_DEP_1)
	v_dual_sub_f32 v26, v50, v53 :: v_dual_add_f32 v27, v51, v56
	s_delay_alu instid0(TRANS32_DEP_1) | instid1(VALU_DEP_1)
	v_dual_mul_f32 v58, v27, v57 :: v_dual_add_f32 v52, v52, v26
	s_delay_alu instid0(VALU_DEP_1) | instskip(NEXT) | instid1(VALU_DEP_1)
	v_dual_sub_f32 v59, v51, v27 :: v_dual_mul_f32 v28, v53, v58
	v_fma_f32 v50, v58, v53, -v28
	s_delay_alu instid0(VALU_DEP_1) | instskip(NEXT) | instid1(VALU_DEP_1)
	v_fmac_f32_e32 v50, v58, v52
	v_add_f32_e32 v26, v28, v50
	s_delay_alu instid0(VALU_DEP_1) | instskip(NEXT) | instid1(VALU_DEP_1)
	v_dual_sub_f32 v29, v27, v26 :: v_dual_mov_b32 v51, v26
	v_pk_add_f32 v[26:27], v[26:27], v[28:29] neg_lo:[0,1] neg_hi:[0,1]
	v_add_f32_e32 v28, v56, v59
	s_delay_alu instid0(VALU_DEP_2) | instskip(NEXT) | instid1(VALU_DEP_1)
	v_pk_add_f32 v[26:27], v[26:27], v[50:51] neg_lo:[0,1] neg_hi:[0,1]
	v_add_f32_e32 v27, v28, v27
	s_delay_alu instid0(VALU_DEP_1) | instskip(NEXT) | instid1(VALU_DEP_1)
	v_add_f32_e32 v56, v26, v27
	v_add_f32_e32 v27, v29, v56
	s_delay_alu instid0(VALU_DEP_1) | instskip(NEXT) | instid1(VALU_DEP_1)
	v_mul_f32_e32 v59, v57, v27
	v_mul_f32_e32 v50, v53, v59
	s_delay_alu instid0(VALU_DEP_1) | instskip(NEXT) | instid1(VALU_DEP_1)
	v_fma_f32 v28, v59, v53, -v50
	v_dual_fmac_f32 v28, v59, v52 :: v_dual_sub_f32 v52, v29, v27
	s_delay_alu instid0(VALU_DEP_1) | instskip(NEXT) | instid1(VALU_DEP_1)
	v_add_f32_e32 v26, v50, v28
	v_dual_sub_f32 v51, v27, v26 :: v_dual_mov_b32 v29, v26
	s_delay_alu instid0(VALU_DEP_1) | instskip(NEXT) | instid1(VALU_DEP_1)
	v_pk_add_f32 v[26:27], v[26:27], v[50:51] neg_lo:[0,1] neg_hi:[0,1]
	v_pk_add_f32 v[26:27], v[26:27], v[28:29] neg_lo:[0,1] neg_hi:[0,1]
	v_add_f32_e32 v50, v56, v52
	v_cvt_f32_i32_e32 v28, v37
	s_delay_alu instid0(VALU_DEP_2) | instskip(NEXT) | instid1(VALU_DEP_1)
	v_add_f32_e32 v27, v50, v27
	v_add_f32_e32 v26, v26, v27
	s_delay_alu instid0(VALU_DEP_1) | instskip(NEXT) | instid1(VALU_DEP_1)
	v_dual_add_f32 v26, v51, v26 :: v_dual_add_f32 v50, v58, v59
	v_mul_f32_e32 v26, v57, v26
	s_delay_alu instid0(VALU_DEP_2) | instskip(NEXT) | instid1(VALU_DEP_1)
	v_sub_f32_e32 v27, v50, v58
	v_sub_f32_e32 v27, v59, v27
	s_delay_alu instid0(VALU_DEP_1) | instskip(NEXT) | instid1(VALU_DEP_1)
	v_add_f32_e32 v52, v27, v26
	v_dual_mov_b32 v26, 0x3f317218 :: v_dual_add_f32 v51, v50, v52
	s_delay_alu instid0(VALU_DEP_1) | instskip(NEXT) | instid1(VALU_DEP_1)
	v_mul_f32_e32 v27, v51, v51
	v_fmaak_f32 v53, s0, v27, 0x3ecc95a3
	v_mul_f32_e32 v29, v51, v27
	v_cmp_neq_f32_e64 s0, 0x7f800000, v55
	s_delay_alu instid0(VALU_DEP_3) | instskip(NEXT) | instid1(VALU_DEP_1)
	v_fmaak_f32 v27, v27, v53, 0x3f2aaada
	v_pk_mul_f32 v[26:27], v[28:29], v[26:27]
	v_ldexp_f32 v29, v51, 1
	s_delay_alu instid0(VALU_DEP_2) | instskip(NEXT) | instid1(VALU_DEP_1)
	v_fma_f32 v37, 0x3f317218, v28, -v26
	v_dual_fmamk_f32 v28, v28, 0xb102e308, v37 :: v_dual_sub_f32 v37, v51, v50
	s_delay_alu instid0(VALU_DEP_1) | instskip(NEXT) | instid1(VALU_DEP_2)
	v_pk_add_f32 v[50:51], v[26:27], v[28:29]
	v_dual_sub_f32 v37, v52, v37 :: v_dual_mov_b32 v52, v26
	s_delay_alu instid0(VALU_DEP_2) | instskip(NEXT) | instid1(VALU_DEP_2)
	v_sub_f32_e32 v29, v51, v29
	v_ldexp_f32 v37, v37, 1
	s_delay_alu instid0(VALU_DEP_2) | instskip(SKIP_1) | instid1(VALU_DEP_2)
	v_sub_f32_e32 v29, v27, v29
	v_pk_add_f32 v[26:27], v[50:51], v[26:27] neg_lo:[0,1] neg_hi:[0,1]
	v_dual_add_f32 v53, v37, v29 :: v_dual_mov_b32 v29, v50
	s_delay_alu instid0(VALU_DEP_1) | instskip(NEXT) | instid1(VALU_DEP_1)
	v_pk_add_f32 v[56:57], v[50:51], v[52:53]
	v_mov_b32_e32 v27, v57
	s_delay_alu instid0(VALU_DEP_1) | instskip(SKIP_2) | instid1(VALU_DEP_3)
	v_pk_add_f32 v[58:59], v[28:29], v[26:27]
	v_mov_b32_e32 v58, v57
	v_pk_add_f32 v[26:27], v[28:29], v[26:27] neg_lo:[0,1] neg_hi:[0,1]
	v_dual_mov_b32 v52, v59 :: v_dual_mov_b32 v27, v59
	s_delay_alu instid0(VALU_DEP_1) | instskip(SKIP_1) | instid1(VALU_DEP_2)
	v_pk_add_f32 v[60:61], v[52:53], v[50:51] neg_lo:[0,1] neg_hi:[0,1]
	v_dual_mov_b32 v62, v51 :: v_dual_mov_b32 v51, v50
	v_dual_mov_b32 v50, v53 :: v_dual_mov_b32 v63, v60
	v_mov_b32_e32 v37, v60
	s_delay_alu instid0(VALU_DEP_2) | instskip(NEXT) | instid1(VALU_DEP_2)
	v_pk_add_f32 v[60:61], v[58:59], v[62:63] neg_lo:[0,1] neg_hi:[0,1]
	v_pk_add_f32 v[28:29], v[56:57], v[36:37] neg_lo:[0,1] neg_hi:[0,1]
	v_mov_b32_e32 v28, v26
	s_delay_alu instid0(VALU_DEP_3) | instskip(NEXT) | instid1(VALU_DEP_1)
	v_pk_add_f32 v[50:51], v[50:51], v[60:61] neg_lo:[0,1] neg_hi:[0,1]
	v_pk_add_f32 v[28:29], v[28:29], v[50:51]
	s_delay_alu instid0(VALU_DEP_1) | instskip(NEXT) | instid1(VALU_DEP_1)
	v_mov_b32_e32 v56, v29
	v_pk_add_f32 v[56:57], v[28:29], v[56:57]
	s_delay_alu instid0(VALU_DEP_1) | instskip(NEXT) | instid1(VALU_DEP_1)
	v_pk_add_f32 v[52:53], v[52:53], v[56:57]
	v_dual_mov_b32 v51, v56 :: v_dual_mov_b32 v29, v52
	s_delay_alu instid0(VALU_DEP_1) | instskip(NEXT) | instid1(VALU_DEP_1)
	v_pk_add_f32 v[58:59], v[28:29], v[26:27] neg_lo:[0,1] neg_hi:[0,1]
	v_sub_f32_e32 v27, v28, v58
	s_delay_alu instid0(VALU_DEP_2) | instskip(NEXT) | instid1(VALU_DEP_2)
	v_pk_add_f32 v[28:29], v[50:51], v[58:59] neg_lo:[0,1] neg_hi:[0,1]
	v_sub_f32_e32 v26, v26, v27
	s_delay_alu instid0(VALU_DEP_1) | instskip(NEXT) | instid1(VALU_DEP_1)
	v_add_f32_e32 v26, v28, v26
	v_add_f32_e32 v26, v26, v29
	s_delay_alu instid0(VALU_DEP_1) | instskip(NEXT) | instid1(VALU_DEP_1)
	v_add_f32_e32 v26, v52, v26
	v_cndmask_b32_e64 v26, 0x7f800000, v26, s0
	v_cmp_gt_f32_e64 s0, 0x33800000, v55
	s_delay_alu instid0(VALU_DEP_1)
	v_cndmask_b32_e64 v26, v26, v55, s0
.LBB8_16:
	s_or_b32 exec_lo, exec_lo, s1
	v_add_nc_u64_e32 v[50:51], s[12:13], v[44:45]
	s_delay_alu instid0(VALU_DEP_2)
	v_dual_mul_f32 v28, v26, v14 :: v_dual_mov_b32 v29, 0
	v_dual_mul_f32 v37, v26, v15 :: v_dual_mul_f32 v44, v26, v16
	v_dual_mul_f32 v45, v26, v17 :: v_dual_mul_f32 v53, v26, v10
	global_load_b32 v27, v[50:51], off
	v_dual_mul_f32 v55, v26, v11 :: v_dual_mul_f32 v88, v26, v12
	v_dual_mul_f32 v89, v26, v13 :: v_dual_mul_f32 v90, v26, v6
	;; [unrolled: 1-line block ×7, first 2 shown]
	ds_load_b128 v[56:59], v29
	ds_load_b128 v[60:63], v29 offset:16
	ds_load_b128 v[64:67], v29 offset:32
	;; [unrolled: 1-line block ×3, first 2 shown]
	v_dual_mul_f32 v101, 0x3fb8aa3b, v53 :: v_dual_mul_f32 v102, 0x3fb8aa3b, v55
	ds_load_b128 v[72:75], v29 offset:64
	ds_load_b128 v[76:79], v29 offset:80
	v_dual_mul_f32 v104, 0x3fb8aa3b, v89 :: v_dual_mul_f32 v105, 0x3fb8aa3b, v90
	v_dual_mul_f32 v106, 0x3fb8aa3b, v91 :: v_dual_mul_f32 v107, 0x3fb8aa3b, v92
	v_mul_f32_e32 v110, 0x3fb8aa3b, v95
	ds_load_b128 v[80:83], v29 offset:96
	ds_load_b128 v[84:87], v29 offset:112
	v_mul_f32_e32 v29, 0x3fb8aa3b, v96
	v_fma_f32 v112, 0x3fb8aa3b, v28, -v52
	v_rndne_f32_e32 v113, v52
	v_dual_mul_f32 v108, 0x3fb8aa3b, v93 :: v_dual_mul_f32 v109, 0x3fb8aa3b, v94
	v_fma_f32 v114, 0x3fb8aa3b, v37, -v98
	v_rndne_f32_e32 v115, v98
	v_mul_f32_e32 v111, 0x3fb8aa3b, v97
	v_rndne_f32_e32 v117, v99
	v_rndne_f32_e32 v123, v102
	v_fma_f32 v128, 0x3fb8aa3b, v90, -v105
	v_rndne_f32_e32 v131, v106
	v_fma_f32 v140, 0x3fb8aa3b, v96, -v29
	v_rndne_f32_e32 v141, v29
	v_fmac_f32_e32 v112, 0x32a5705f, v28
	v_sub_f32_e32 v52, v52, v113
	v_dual_mul_f32 v100, 0x3fb8aa3b, v45 :: v_dual_mul_f32 v103, 0x3fb8aa3b, v88
	v_fma_f32 v116, 0x3fb8aa3b, v44, -v99
	v_fma_f32 v122, 0x3fb8aa3b, v55, -v102
	;; [unrolled: 1-line block ×3, first 2 shown]
	v_rndne_f32_e32 v135, v108
	v_fma_f32 v136, 0x3fb8aa3b, v94, -v109
	v_sub_f32_e32 v98, v98, v115
	v_rndne_f32_e32 v143, v111
	v_fmac_f32_e32 v114, 0x32a5705f, v37
	v_dual_sub_f32 v99, v99, v117 :: v_dual_sub_f32 v102, v102, v123
	v_dual_fmac_f32 v128, 0x32a5705f, v90 :: v_dual_sub_f32 v29, v29, v141
	v_dual_sub_f32 v106, v106, v131 :: v_dual_add_f32 v52, v52, v112
	v_fmac_f32_e32 v140, 0x32a5705f, v96
	v_fma_f32 v118, 0x3fb8aa3b, v45, -v100
	v_rndne_f32_e32 v119, v100
	v_rndne_f32_e32 v121, v101
	v_fma_f32 v134, 0x3fb8aa3b, v93, -v108
	v_fma_f32 v142, 0x3fb8aa3b, v97, -v111
	v_fmac_f32_e32 v116, 0x32a5705f, v44
	v_dual_fmac_f32 v136, 0x32a5705f, v94 :: v_dual_add_f32 v29, v29, v140
	v_sub_f32_e32 v111, v111, v143
	v_dual_sub_f32 v108, v108, v135 :: v_dual_add_f32 v98, v98, v114
	v_exp_f32_e32 v52, v52
	v_cvt_i32_f32_e32 v113, v113
	v_fma_f32 v120, 0x3fb8aa3b, v53, -v101
	v_fma_f32 v124, 0x3fb8aa3b, v88, -v103
	v_rndne_f32_e32 v125, v103
	v_rndne_f32_e32 v133, v107
	;; [unrolled: 1-line block ×3, first 2 shown]
	v_dual_sub_f32 v100, v100, v119 :: v_dual_sub_f32 v101, v101, v121
	v_dual_fmac_f32 v118, 0x32a5705f, v45 :: v_dual_add_f32 v99, v99, v116
	v_exp_f32_e32 v98, v98
	v_exp_f32_e32 v29, v29
	v_rndne_f32_e32 v129, v105
	v_fmac_f32_e32 v122, 0x32a5705f, v55
	v_cvt_i32_f32_e32 v115, v115
	v_cvt_i32_f32_e32 v141, v141
	v_ldexp_f32 v52, v52, v113
	v_cmp_ngt_f32_e64 s0, 0xc2ce8ed0, v28
	v_fma_f32 v126, 0x3fb8aa3b, v89, -v104
	v_fma_f32 v132, 0x3fb8aa3b, v92, -v107
	;; [unrolled: 1-line block ×3, first 2 shown]
	v_dual_fmac_f32 v124, 0x32a5705f, v88 :: v_dual_sub_f32 v107, v107, v133
	v_sub_f32_e32 v103, v103, v125
	v_fmac_f32_e32 v120, 0x32a5705f, v53
	v_dual_sub_f32 v110, v110, v139 :: v_dual_add_f32 v100, v100, v118
	v_exp_f32_e32 v99, v99
	v_rndne_f32_e32 v127, v104
	v_sub_f32_e32 v105, v105, v129
	v_cvt_i32_f32_e32 v117, v117
	v_add_f32_e32 v102, v102, v122
	v_ldexp_f32 v98, v98, v115
	v_ldexp_f32 v112, v29, v141
	v_cndmask_b32_e64 v29, 0, v52, s0
	v_cmp_ngt_f32_e64 s0, 0xc2ce8ed0, v37
	v_dual_add_f32 v103, v103, v124 :: v_dual_fmac_f32 v126, 0x32a5705f, v89
	v_add_f32_e32 v101, v101, v120
	v_exp_f32_e32 v100, v100
	v_rndne_f32_e32 v137, v109
	v_sub_f32_e32 v104, v104, v127
	v_cvt_i32_f32_e32 v119, v119
	v_ldexp_f32 v99, v99, v117
	v_cndmask_b32_e64 v98, 0, v98, s0
	v_cmp_ngt_f32_e64 s0, 0xc2ce8ed0, v44
	v_exp_f32_e32 v101, v101
	v_dual_fmac_f32 v130, 0x32a5705f, v91 :: v_dual_add_f32 v105, v105, v128
	v_cvt_i32_f32_e32 v121, v121
	v_sub_f32_e32 v109, v109, v137
	v_fmac_f32_e32 v142, 0x32a5705f, v97
	v_dual_add_f32 v104, v104, v126 :: v_dual_cndmask_b32 v99, 0, v99, s0
	v_ldexp_f32 v100, v100, v119
	v_cmp_ngt_f32_e64 s0, 0xc2ce8ed0, v45
	v_exp_f32_e32 v102, v102
	v_cvt_i32_f32_e32 v123, v123
	v_dual_fmac_f32 v132, 0x32a5705f, v92 :: v_dual_add_f32 v111, v111, v142
	v_fmac_f32_e32 v134, 0x32a5705f, v93
	v_dual_add_f32 v106, v106, v130 :: v_dual_cndmask_b32 v100, 0, v100, s0
	v_ldexp_f32 v101, v101, v121
	v_cmp_ngt_f32_e64 s0, 0xc2ce8ed0, v53
	v_exp_f32_e32 v103, v103
	v_exp_f32_e32 v105, v105
	v_cvt_i32_f32_e32 v125, v125
	v_cvt_i32_f32_e32 v129, v129
	v_dual_add_f32 v107, v107, v132 :: v_dual_add_f32 v108, v108, v134
	v_cndmask_b32_e64 v101, 0, v101, s0
	v_ldexp_f32 v102, v102, v123
	v_cmp_ngt_f32_e64 s0, 0xc2ce8ed0, v55
	v_exp_f32_e32 v104, v104
	v_cvt_i32_f32_e32 v127, v127
	v_dual_fmac_f32 v138, 0x32a5705f, v95 :: v_dual_add_f32 v109, v109, v136
	v_ldexp_f32 v103, v103, v125
	v_ldexp_f32 v105, v105, v129
	v_cndmask_b32_e64 v102, 0, v102, s0
	v_cmp_ngt_f32_e64 s0, 0xc2ce8ed0, v88
	v_add_f32_e32 v110, v110, v138
	v_ldexp_f32 v104, v104, v127
	v_exp_f32_e32 v106, v106
	v_cvt_i32_f32_e32 v131, v131
	v_cndmask_b32_e64 v103, 0, v103, s0
	v_cmp_ngt_f32_e64 s0, 0xc2ce8ed0, v89
	v_exp_f32_e32 v107, v107
	v_cvt_i32_f32_e32 v133, v133
	v_exp_f32_e32 v108, v108
	v_ldexp_f32 v106, v106, v131
	v_cndmask_b32_e64 v104, 0, v104, s0
	v_cmp_ngt_f32_e64 s0, 0xc2ce8ed0, v90
	v_cvt_i32_f32_e32 v135, v135
	v_ldexp_f32 v107, v107, v133
	v_exp_f32_e32 v109, v109
	v_cvt_i32_f32_e32 v137, v137
	v_cndmask_b32_e64 v105, 0, v105, s0
	v_cmp_ngt_f32_e64 s0, 0xc2ce8ed0, v91
	v_ldexp_f32 v108, v108, v135
	v_exp_f32_e32 v110, v110
	v_cvt_i32_f32_e32 v139, v139
	v_ldexp_f32 v109, v109, v137
	v_cndmask_b32_e64 v106, 0, v106, s0
	v_cmp_nlt_f32_e64 s0, 0x42b17218, v28
	v_exp_f32_e32 v111, v111
	v_cvt_i32_f32_e32 v143, v143
	v_ldexp_f32 v110, v110, v139
	s_delay_alu instid0(TRANS32_DEP_1) | instid1(VALU_DEP_2)
	v_ldexp_f32 v111, v111, v143
	s_wait_loadcnt 0x0
	v_mul_f32_e32 v52, v26, v27
	v_cndmask_b32_e64 v26, 0x7f800000, v29, s0
	v_cmp_nlt_f32_e64 s0, 0x42b17218, v37
	s_wait_dscnt 0x7
	s_delay_alu instid0(VALU_DEP_3) | instskip(NEXT) | instid1(VALU_DEP_2)
	v_pk_mul_f32 v[28:29], v[52:53], v[56:57] op_sel_hi:[0,1]
	v_cndmask_b32_e64 v27, 0x7f800000, v98, s0
	v_cmp_ngt_f32_e64 s0, 0xc2ce8ed0, v92
	s_delay_alu instid0(VALU_DEP_2) | instskip(NEXT) | instid1(VALU_DEP_2)
	v_pk_fma_f32 v[26:27], v[42:43], v[26:27], v[28:29]
	v_cndmask_b32_e64 v37, 0, v107, s0
	v_cmp_nlt_f32_e64 s0, 0x42b17218, v44
	v_pk_mul_f32 v[28:29], v[52:53], v[58:59] op_sel_hi:[0,1]
	s_delay_alu instid0(VALU_DEP_2) | instskip(SKIP_1) | instid1(VALU_DEP_1)
	v_cndmask_b32_e64 v44, 0x7f800000, v99, s0
	v_cmp_nlt_f32_e64 s0, 0x42b17218, v45
	v_cndmask_b32_e64 v45, 0x7f800000, v100, s0
	v_cmp_nlt_f32_e64 s0, 0x42b17218, v53
	s_wait_dscnt 0x3
	v_fma_f32 v53, v72, v26, 0
	s_delay_alu instid0(VALU_DEP_3) | instskip(NEXT) | instid1(VALU_DEP_3)
	v_pk_fma_f32 v[28:29], v[32:33], v[44:45], v[28:29]
	v_cndmask_b32_e64 v42, 0x7f800000, v101, s0
	v_cmp_nlt_f32_e64 s0, 0x42b17218, v55
	s_delay_alu instid0(VALU_DEP_4) | instskip(SKIP_1) | instid1(VALU_DEP_3)
	v_pk_mul_f32 v[56:57], v[52:53], v[60:61] op_sel_hi:[0,1]
	v_fmac_f32_e32 v53, v73, v27
	v_cndmask_b32_e64 v43, 0x7f800000, v102, s0
	v_cmp_ngt_f32_e64 s0, 0xc2ce8ed0, v93
	s_delay_alu instid0(VALU_DEP_3) | instskip(NEXT) | instid1(VALU_DEP_3)
	v_fmac_f32_e32 v53, v74, v28
	v_pk_fma_f32 v[30:31], v[30:31], v[42:43], v[56:57]
	s_delay_alu instid0(VALU_DEP_3) | instskip(SKIP_1) | instid1(VALU_DEP_4)
	v_cndmask_b32_e64 v55, 0, v108, s0
	v_cmp_nlt_f32_e64 s0, 0x42b17218, v88
	v_pk_mul_f32 v[42:43], v[52:53], v[62:63] op_sel_hi:[0,1]
	s_wait_dscnt 0x2
	v_pk_mul_f32 v[44:45], v[76:77], v[30:31]
	s_delay_alu instid0(VALU_DEP_3) | instskip(SKIP_1) | instid1(VALU_DEP_1)
	v_cndmask_b32_e64 v32, 0x7f800000, v103, s0
	v_cmp_nlt_f32_e64 s0, 0x42b17218, v89
	v_cndmask_b32_e64 v33, 0x7f800000, v104, s0
	v_cmp_ngt_f32_e64 s0, 0xc2ce8ed0, v94
	s_delay_alu instid0(VALU_DEP_2) | instskip(NEXT) | instid1(VALU_DEP_1)
	v_pk_fma_f32 v[32:33], v[46:47], v[32:33], v[42:43]
	v_pk_mul_f32 v[46:47], v[78:79], v[32:33]
	v_fmac_f32_e32 v53, v75, v29
	s_delay_alu instid0(VALU_DEP_4) | instskip(SKIP_1) | instid1(VALU_DEP_3)
	v_cndmask_b32_e64 v58, 0, v109, s0
	v_cmp_nlt_f32_e64 s0, 0x42b17218, v90
	v_add_f32_e32 v44, v53, v44
	v_pk_mul_f32 v[42:43], v[52:53], v[64:65] op_sel_hi:[0,1]
	s_delay_alu instid0(VALU_DEP_3) | instskip(SKIP_1) | instid1(VALU_DEP_1)
	v_cndmask_b32_e64 v56, 0x7f800000, v105, s0
	v_cmp_nlt_f32_e64 s0, 0x42b17218, v91
	v_cndmask_b32_e64 v57, 0x7f800000, v106, s0
	v_cmp_ngt_f32_e64 s0, 0xc2ce8ed0, v95
	v_add_f32_e32 v45, v44, v45
	s_delay_alu instid0(VALU_DEP_3) | instskip(NEXT) | instid1(VALU_DEP_3)
	v_pk_fma_f32 v[42:43], v[22:23], v[56:57], v[42:43]
	v_cndmask_b32_e64 v53, 0, v110, s0
	v_cmp_nlt_f32_e64 s0, 0x42b17218, v92
	s_wait_dscnt 0x1
	s_delay_alu instid0(VALU_DEP_3) | instskip(NEXT) | instid1(VALU_DEP_3)
	v_pk_mul_f32 v[56:57], v[80:81], v[42:43]
	v_pk_mul_f32 v[22:23], v[52:53], v[66:67] op_sel_hi:[0,1]
	s_delay_alu instid0(VALU_DEP_3) | instskip(SKIP_2) | instid1(VALU_DEP_2)
	v_cndmask_b32_e64 v44, 0x7f800000, v37, s0
	v_cmp_nlt_f32_e64 s0, 0x42b17218, v93
	v_add_f32_e32 v37, v45, v46
	v_cndmask_b32_e64 v45, 0x7f800000, v55, s0
	v_cmp_ngt_f32_e64 s0, 0xc2ce8ed0, v96
	s_delay_alu instid0(VALU_DEP_3) | instskip(NEXT) | instid1(VALU_DEP_3)
	v_add_f32_e32 v37, v37, v47
	v_pk_fma_f32 v[44:45], v[24:25], v[44:45], v[22:23]
	s_delay_alu instid0(VALU_DEP_3) | instskip(SKIP_2) | instid1(VALU_DEP_4)
	v_cndmask_b32_e64 v55, 0, v112, s0
	v_cmp_nlt_f32_e64 s0, 0x42b17218, v94
	v_pk_mul_f32 v[22:23], v[52:53], v[68:69] op_sel_hi:[0,1]
	v_pk_mul_f32 v[24:25], v[82:83], v[44:45]
	s_delay_alu instid0(VALU_DEP_3) | instskip(SKIP_1) | instid1(VALU_DEP_1)
	v_cndmask_b32_e64 v46, 0x7f800000, v58, s0
	v_cmp_nlt_f32_e64 s0, 0x42b17218, v95
	v_cndmask_b32_e64 v47, 0x7f800000, v53, s0
	v_cmp_ngt_f32_e64 s0, 0xc2ce8ed0, v97
	v_add_f32_e32 v37, v37, v56
	s_delay_alu instid0(VALU_DEP_3) | instskip(NEXT) | instid1(VALU_DEP_3)
	v_pk_fma_f32 v[18:19], v[18:19], v[46:47], v[22:23]
	v_cndmask_b32_e64 v53, 0, v111, s0
	v_cmp_nlt_f32_e64 s0, 0x42b17218, v96
	s_wait_dscnt 0x0
	s_delay_alu instid0(VALU_DEP_3) | instskip(SKIP_1) | instid1(VALU_DEP_3)
	v_pk_mul_f32 v[46:47], v[84:85], v[18:19]
	v_add_f32_e32 v37, v37, v57
	v_cndmask_b32_e64 v56, 0x7f800000, v55, s0
	v_cmp_nlt_f32_e64 s0, 0x42b17218, v97
	v_pk_mul_f32 v[22:23], v[52:53], v[70:71] op_sel_hi:[0,1]
	s_delay_alu instid0(VALU_DEP_2) | instskip(NEXT) | instid1(VALU_DEP_1)
	v_cndmask_b32_e64 v57, 0x7f800000, v53, s0
	v_pk_fma_f32 v[20:21], v[20:21], v[56:57], v[22:23]
	s_delay_alu instid0(VALU_DEP_1) | instskip(SKIP_1) | instid1(VALU_DEP_1)
	v_pk_mul_f32 v[22:23], v[86:87], v[20:21]
	v_add_f32_e32 v24, v37, v24
	v_add_f32_e32 v24, v24, v25
	s_delay_alu instid0(VALU_DEP_1) | instskip(NEXT) | instid1(VALU_DEP_1)
	v_add_f32_e32 v24, v24, v46
	v_add_f32_e32 v37, v24, v47
	v_mad_nc_i64_i32 v[24:25], s6, 12, v[0:1]
	s_delay_alu instid0(VALU_DEP_2) | instskip(NEXT) | instid1(VALU_DEP_1)
	v_add_f32_e32 v22, v37, v22
	v_add_f32_e32 v22, v22, v23
	global_store_b32 v[24:25], v22, off
	s_wait_storecnt 0x0
	s_barrier_signal -1
	s_barrier_wait -1
	s_wait_xcnt 0x0
	s_and_saveexec_b32 s0, vcc_lo
	s_cbranch_execz .LBB8_18
; %bb.17:
	v_lshl_add_u64 v[22:23], s[8:9], 4, v[40:41]
	v_lshl_add_u64 v[24:25], s[2:3], 4, v[38:39]
	global_load_b32 v37, v[22:23], off
	global_load_b32 v46, v[24:25], off
	s_wait_loadcnt 0x1
	ds_store_b32 v36, v37
	s_wait_loadcnt 0x0
	ds_store_b32 v54, v46
.LBB8_18:
	s_or_b32 exec_lo, exec_lo, s0
	v_add_nc_u64_e32 v[22:23], s[14:15], v[48:49]
	s_wait_dscnt 0x0
	s_barrier_signal -1
	s_barrier_wait -1
	s_mov_b32 s1, exec_lo
	global_load_b32 v37, v[22:23], off
	s_wait_loadcnt 0x0
	v_cmpx_ge_f32_e32 0x41a00000, v37
	s_cbranch_execz .LBB8_20
; %bb.19:
	v_mul_f32_e32 v24, 0x3fb8aa3b, v37
	v_cmp_ngt_f32_e64 s0, 0xc2ce8ed0, v37
	s_delay_alu instid0(VALU_DEP_2) | instskip(SKIP_1) | instid1(VALU_DEP_2)
	v_rndne_f32_e32 v25, v24
	v_fma_f32 v46, 0x3fb8aa3b, v37, -v24
	v_sub_f32_e32 v24, v24, v25
	s_delay_alu instid0(VALU_DEP_2) | instskip(SKIP_1) | instid1(VALU_DEP_2)
	v_fmamk_f32 v46, v37, 0x32a5705f, v46
	v_cvt_i32_f32_e32 v25, v25
	v_add_f32_e32 v24, v24, v46
	s_delay_alu instid0(VALU_DEP_1) | instskip(SKIP_1) | instid1(TRANS32_DEP_1)
	v_exp_f32_e32 v24, v24
	v_nop
	v_ldexp_f32 v24, v24, v25
	s_delay_alu instid0(VALU_DEP_1) | instskip(SKIP_1) | instid1(VALU_DEP_1)
	v_cndmask_b32_e64 v24, 0, v24, s0
	v_cmp_nlt_f32_e64 s0, 0x42b17218, v37
	v_cndmask_b32_e64 v55, 0x7f800000, v24, s0
	s_delay_alu instid0(VALU_DEP_1) | instskip(NEXT) | instid1(VALU_DEP_1)
	v_add_f32_e32 v37, 1.0, v55
	v_cvt_f64_f32_e32 v[24:25], v37
	s_delay_alu instid0(VALU_DEP_1) | instskip(SKIP_1) | instid1(VALU_DEP_1)
	v_frexp_exp_i32_f64_e32 v24, v[24:25]
	v_frexp_mant_f32_e32 v25, v37
	v_cmp_gt_f32_e64 s0, 0x3f2aaaab, v25
	s_delay_alu instid0(VALU_DEP_1) | instskip(SKIP_2) | instid1(VALU_DEP_1)
	v_subrev_co_ci_u32_e64 v52, null, 0, v24, s0
	v_add_f32_e32 v24, -1.0, v37
	s_mov_b32 s0, 0x3e9b6dac
	v_dual_sub_f32 v46, v24, v37 :: v_dual_sub_nc_u32 v25, 0, v52
	s_delay_alu instid0(VALU_DEP_1) | instskip(NEXT) | instid1(VALU_DEP_1)
	v_ldexp_f32 v37, v37, v25
	v_dual_add_f32 v47, 1.0, v37 :: v_dual_add_f32 v49, -1.0, v37
	s_delay_alu instid0(VALU_DEP_3) | instskip(NEXT) | instid1(VALU_DEP_1)
	v_dual_sub_f32 v24, v55, v24 :: v_dual_add_f32 v46, 1.0, v46
	v_dual_add_f32 v24, v24, v46 :: v_dual_add_f32 v46, -1.0, v47
	s_delay_alu instid0(VALU_DEP_1) | instskip(NEXT) | instid1(VALU_DEP_2)
	v_ldexp_f32 v24, v24, v25
	v_sub_f32_e32 v25, v37, v46
	s_delay_alu instid0(VALU_DEP_1) | instskip(SKIP_1) | instid1(VALU_DEP_1)
	v_add_f32_e32 v48, v24, v25
	v_add_f32_e32 v46, 1.0, v49
	v_dual_sub_f32 v25, v37, v46 :: v_dual_add_f32 v37, v47, v48
	s_delay_alu instid0(VALU_DEP_1) | instskip(NEXT) | instid1(VALU_DEP_1)
	v_rcp_f32_e32 v56, v37
	v_add_f32_e32 v53, v24, v25
	v_sub_f32_e32 v24, v47, v37
	s_delay_alu instid0(VALU_DEP_1)
	v_dual_add_f32 v25, v49, v53 :: v_dual_add_f32 v58, v48, v24
	s_delay_alu instid0(TRANS32_DEP_1) | instid1(VALU_DEP_1)
	v_mul_f32_e32 v57, v25, v56
	v_sub_f32_e32 v59, v49, v25
	s_delay_alu instid0(VALU_DEP_2) | instskip(NEXT) | instid1(VALU_DEP_1)
	v_mul_f32_e32 v46, v37, v57
	v_fma_f32 v48, v57, v37, -v46
	s_delay_alu instid0(VALU_DEP_1) | instskip(NEXT) | instid1(VALU_DEP_1)
	v_fmac_f32_e32 v48, v57, v58
	v_add_f32_e32 v24, v46, v48
	s_delay_alu instid0(VALU_DEP_1) | instskip(NEXT) | instid1(VALU_DEP_1)
	v_dual_sub_f32 v47, v25, v24 :: v_dual_mov_b32 v49, v24
	v_pk_add_f32 v[24:25], v[24:25], v[46:47] neg_lo:[0,1] neg_hi:[0,1]
	v_add_f32_e32 v46, v53, v59
	s_delay_alu instid0(VALU_DEP_2) | instskip(NEXT) | instid1(VALU_DEP_1)
	v_pk_add_f32 v[24:25], v[24:25], v[48:49] neg_lo:[0,1] neg_hi:[0,1]
	v_add_f32_e32 v25, v46, v25
	s_delay_alu instid0(VALU_DEP_1) | instskip(NEXT) | instid1(VALU_DEP_1)
	v_add_f32_e32 v53, v24, v25
	v_add_f32_e32 v25, v47, v53
	s_delay_alu instid0(VALU_DEP_1) | instskip(NEXT) | instid1(VALU_DEP_1)
	v_mul_f32_e32 v59, v56, v25
	v_mul_f32_e32 v48, v37, v59
	s_delay_alu instid0(VALU_DEP_1) | instskip(SKIP_1) | instid1(VALU_DEP_1)
	v_fma_f32 v46, v59, v37, -v48
	v_sub_f32_e32 v37, v47, v25
	v_dual_fmac_f32 v46, v59, v58 :: v_dual_add_f32 v37, v53, v37
	s_delay_alu instid0(VALU_DEP_1) | instskip(NEXT) | instid1(VALU_DEP_1)
	v_add_f32_e32 v24, v48, v46
	v_dual_sub_f32 v49, v25, v24 :: v_dual_mov_b32 v47, v24
	s_delay_alu instid0(VALU_DEP_1) | instskip(NEXT) | instid1(VALU_DEP_1)
	v_pk_add_f32 v[24:25], v[24:25], v[48:49] neg_lo:[0,1] neg_hi:[0,1]
	v_pk_add_f32 v[24:25], v[24:25], v[46:47] neg_lo:[0,1] neg_hi:[0,1]
	v_cvt_f32_i32_e32 v46, v52
	s_delay_alu instid0(VALU_DEP_2) | instskip(NEXT) | instid1(VALU_DEP_1)
	v_add_f32_e32 v25, v37, v25
	v_dual_add_f32 v37, v57, v59 :: v_dual_add_f32 v24, v24, v25
	s_delay_alu instid0(VALU_DEP_1) | instskip(NEXT) | instid1(VALU_DEP_1)
	v_sub_f32_e32 v25, v37, v57
	v_dual_add_f32 v24, v49, v24 :: v_dual_sub_f32 v25, v59, v25
	s_delay_alu instid0(VALU_DEP_1) | instskip(NEXT) | instid1(VALU_DEP_1)
	v_mul_f32_e32 v24, v56, v24
	v_dual_add_f32 v53, v25, v24 :: v_dual_mov_b32 v24, 0x3f317218
	s_delay_alu instid0(VALU_DEP_1) | instskip(NEXT) | instid1(VALU_DEP_1)
	v_add_f32_e32 v48, v37, v53
	v_mul_f32_e32 v25, v48, v48
	s_delay_alu instid0(VALU_DEP_1) | instskip(SKIP_2) | instid1(VALU_DEP_3)
	v_fmaak_f32 v49, s0, v25, 0x3ecc95a3
	v_mul_f32_e32 v47, v48, v25
	v_cmp_neq_f32_e64 s0, 0x7f800000, v55
	v_fmaak_f32 v25, v25, v49, 0x3f2aaada
	s_delay_alu instid0(VALU_DEP_1) | instskip(NEXT) | instid1(VALU_DEP_1)
	v_pk_mul_f32 v[24:25], v[46:47], v[24:25]
	v_fma_f32 v49, 0x3f317218, v46, -v24
	v_mov_b32_e32 v52, v24
	v_ldexp_f32 v47, v48, 1
	s_delay_alu instid0(VALU_DEP_3) | instskip(NEXT) | instid1(VALU_DEP_1)
	v_dual_sub_f32 v37, v48, v37 :: v_dual_fmamk_f32 v46, v46, 0xb102e308, v49
	v_pk_add_f32 v[48:49], v[24:25], v[46:47]
	s_delay_alu instid0(VALU_DEP_2) | instskip(NEXT) | instid1(VALU_DEP_2)
	v_sub_f32_e32 v37, v53, v37
	v_dual_sub_f32 v47, v49, v47 :: v_dual_mov_b32 v62, v49
	s_delay_alu instid0(VALU_DEP_2) | instskip(NEXT) | instid1(VALU_DEP_2)
	v_ldexp_f32 v37, v37, 1
	v_sub_f32_e32 v47, v25, v47
	v_pk_add_f32 v[24:25], v[48:49], v[24:25] neg_lo:[0,1] neg_hi:[0,1]
	s_delay_alu instid0(VALU_DEP_2) | instskip(NEXT) | instid1(VALU_DEP_1)
	v_dual_add_f32 v53, v37, v47 :: v_dual_mov_b32 v47, v48
	v_pk_add_f32 v[56:57], v[48:49], v[52:53]
	s_delay_alu instid0(VALU_DEP_1) | instskip(NEXT) | instid1(VALU_DEP_1)
	v_mov_b32_e32 v25, v57
	v_pk_add_f32 v[58:59], v[46:47], v[24:25]
	v_mov_b32_e32 v58, v57
	v_pk_add_f32 v[24:25], v[46:47], v[24:25] neg_lo:[0,1] neg_hi:[0,1]
	s_delay_alu instid0(VALU_DEP_3) | instskip(NEXT) | instid1(VALU_DEP_1)
	v_dual_mov_b32 v52, v59 :: v_dual_mov_b32 v25, v59
	v_pk_add_f32 v[60:61], v[52:53], v[48:49] neg_lo:[0,1] neg_hi:[0,1]
	v_dual_mov_b32 v49, v48 :: v_dual_mov_b32 v48, v53
	s_delay_alu instid0(VALU_DEP_2) | instskip(NEXT) | instid1(VALU_DEP_1)
	v_dual_mov_b32 v37, v60 :: v_dual_mov_b32 v63, v60
	v_pk_add_f32 v[46:47], v[56:57], v[36:37] neg_lo:[0,1] neg_hi:[0,1]
	s_delay_alu instid0(VALU_DEP_2) | instskip(SKIP_1) | instid1(VALU_DEP_2)
	v_pk_add_f32 v[60:61], v[58:59], v[62:63] neg_lo:[0,1] neg_hi:[0,1]
	v_mov_b32_e32 v46, v24
	v_pk_add_f32 v[48:49], v[48:49], v[60:61] neg_lo:[0,1] neg_hi:[0,1]
	s_delay_alu instid0(VALU_DEP_1) | instskip(NEXT) | instid1(VALU_DEP_1)
	v_pk_add_f32 v[46:47], v[46:47], v[48:49]
	v_mov_b32_e32 v56, v47
	s_delay_alu instid0(VALU_DEP_1) | instskip(NEXT) | instid1(VALU_DEP_1)
	v_pk_add_f32 v[56:57], v[46:47], v[56:57]
	v_pk_add_f32 v[52:53], v[52:53], v[56:57]
	s_delay_alu instid0(VALU_DEP_1) | instskip(NEXT) | instid1(VALU_DEP_1)
	v_dual_mov_b32 v49, v56 :: v_dual_mov_b32 v47, v52
	v_pk_add_f32 v[58:59], v[46:47], v[24:25] neg_lo:[0,1] neg_hi:[0,1]
	s_delay_alu instid0(VALU_DEP_1) | instskip(NEXT) | instid1(VALU_DEP_2)
	v_sub_f32_e32 v25, v46, v58
	v_pk_add_f32 v[46:47], v[48:49], v[58:59] neg_lo:[0,1] neg_hi:[0,1]
	s_delay_alu instid0(VALU_DEP_2) | instskip(NEXT) | instid1(VALU_DEP_1)
	v_sub_f32_e32 v24, v24, v25
	v_add_f32_e32 v24, v46, v24
	s_delay_alu instid0(VALU_DEP_1) | instskip(NEXT) | instid1(VALU_DEP_1)
	v_add_f32_e32 v24, v24, v47
	v_add_f32_e32 v24, v52, v24
	s_delay_alu instid0(VALU_DEP_1) | instskip(SKIP_1) | instid1(VALU_DEP_1)
	v_cndmask_b32_e64 v24, 0x7f800000, v24, s0
	v_cmp_gt_f32_e64 s0, 0x33800000, v55
	v_cndmask_b32_e64 v37, v24, v55, s0
.LBB8_20:
	s_or_b32 exec_lo, exec_lo, s1
	v_add_nc_u64_e32 v[24:25], s[12:13], v[50:51]
	s_delay_alu instid0(VALU_DEP_2)
	v_dual_mul_f32 v81, v37, v14 :: v_dual_mov_b32 v76, 0
	v_dual_mul_f32 v83, v37, v15 :: v_dual_mul_f32 v84, v37, v16
	v_dual_mul_f32 v85, v37, v17 :: v_dual_mul_f32 v86, v37, v10
	global_load_b32 v55, v[24:25], off
	v_dual_mul_f32 v87, v37, v11 :: v_dual_mul_f32 v88, v37, v12
	v_dual_mul_f32 v89, v37, v13 :: v_dual_mul_f32 v90, v37, v6
	;; [unrolled: 1-line block ×3, first 2 shown]
	s_delay_alu instid0(VALU_DEP_3) | instskip(SKIP_3) | instid1(VALU_DEP_3)
	v_dual_mul_f32 v80, 0x3fb8aa3b, v81 :: v_dual_mul_f32 v101, 0x3fb8aa3b, v87
	v_dual_mul_f32 v91, v37, v7 :: v_dual_mul_f32 v92, v37, v8
	;; [unrolled: 1-line block ×6, first 2 shown]
	v_fma_f32 v112, 0x3fb8aa3b, v81, -v80
	v_rndne_f32_e32 v113, v80
	v_dual_mul_f32 v95, v37, v3 :: v_dual_mul_f32 v96, v37, v4
	v_fma_f32 v114, 0x3fb8aa3b, v83, -v82
	v_rndne_f32_e32 v115, v82
	v_fma_f32 v118, 0x3fb8aa3b, v85, -v99
	v_rndne_f32_e32 v119, v99
	v_rndne_f32_e32 v123, v101
	v_rndne_f32_e32 v125, v102
	v_rndne_f32_e32 v135, v107
	v_fmac_f32_e32 v112, 0x32a5705f, v81
	v_dual_sub_f32 v80, v80, v113 :: v_dual_sub_f32 v82, v82, v115
	v_dual_mul_f32 v100, 0x3fb8aa3b, v86 :: v_dual_mul_f32 v103, 0x3fb8aa3b, v89
	v_dual_mul_f32 v108, 0x3fb8aa3b, v94 :: v_dual_mul_f32 v111, 0x3fb8aa3b, v97
	v_dual_mul_f32 v110, 0x3fb8aa3b, v96 :: v_dual_sub_f32 v99, v99, v119
	v_fma_f32 v116, 0x3fb8aa3b, v84, -v98
	v_rndne_f32_e32 v117, v98
	v_fma_f32 v122, 0x3fb8aa3b, v87, -v101
	v_fma_f32 v124, 0x3fb8aa3b, v88, -v102
	v_rndne_f32_e32 v129, v104
	v_fma_f32 v134, 0x3fb8aa3b, v93, -v107
	v_dual_fmac_f32 v118, 0x32a5705f, v85 :: v_dual_sub_f32 v107, v107, v135
	v_fmac_f32_e32 v114, 0x32a5705f, v83
	v_dual_sub_f32 v101, v101, v123 :: v_dual_sub_f32 v102, v102, v125
	v_add_f32_e32 v80, v80, v112
	v_rndne_f32_e32 v121, v100
	v_fma_f32 v142, 0x3fb8aa3b, v97, -v111
	v_rndne_f32_e32 v143, v111
	v_rndne_f32_e32 v127, v103
	v_fma_f32 v128, 0x3fb8aa3b, v90, -v104
	v_rndne_f32_e32 v131, v105
	v_rndne_f32_e32 v137, v108
	v_fmac_f32_e32 v116, 0x32a5705f, v84
	v_dual_sub_f32 v98, v98, v117 :: v_dual_add_f32 v99, v99, v118
	v_dual_sub_f32 v104, v104, v129 :: v_dual_add_f32 v82, v82, v114
	v_exp_f32_e32 v80, v80
	v_fma_f32 v120, 0x3fb8aa3b, v86, -v100
	v_fma_f32 v126, 0x3fb8aa3b, v89, -v103
	;; [unrolled: 1-line block ×3, first 2 shown]
	v_cvt_i32_f32_e32 v113, v113
	v_dual_sub_f32 v100, v100, v121 :: v_dual_sub_f32 v111, v111, v143
	v_fmac_f32_e32 v142, 0x32a5705f, v97
	v_fmac_f32_e32 v134, 0x32a5705f, v93
	v_dual_mul_f32 v106, 0x3fb8aa3b, v92 :: v_dual_mul_f32 v109, 0x3fb8aa3b, v95
	v_fma_f32 v136, 0x3fb8aa3b, v94, -v108
	v_sub_f32_e32 v103, v103, v127
	v_dual_sub_f32 v105, v105, v131 :: v_dual_sub_f32 v108, v108, v137
	v_add_f32_e32 v98, v98, v116
	v_exp_f32_e32 v82, v82
	v_exp_f32_e32 v99, v99
	v_cvt_i32_f32_e32 v115, v115
	v_cvt_i32_f32_e32 v119, v119
	v_dual_add_f32 v111, v111, v142 :: v_dual_fmac_f32 v130, 0x32a5705f, v91
	v_dual_add_f32 v107, v107, v134 :: v_dual_fmac_f32 v126, 0x32a5705f, v89
	v_ldexp_f32 v80, v80, v113
	v_cmp_ngt_f32_e64 s0, 0xc2ce8ed0, v81
	v_rndne_f32_e32 v133, v106
	v_rndne_f32_e32 v139, v109
	v_fmac_f32_e32 v120, 0x32a5705f, v86
	v_exp_f32_e32 v98, v98
	v_fma_f32 v132, 0x3fb8aa3b, v92, -v106
	v_fma_f32 v138, 0x3fb8aa3b, v95, -v109
	v_cvt_i32_f32_e32 v117, v117
	v_dual_add_f32 v105, v105, v130 :: v_dual_fmac_f32 v122, 0x32a5705f, v87
	v_dual_add_f32 v103, v103, v126 :: v_dual_fmac_f32 v124, 0x32a5705f, v88
	v_ldexp_f32 v82, v82, v115
	v_ldexp_f32 v99, v99, v119
	v_cndmask_b32_e64 v112, 0, v80, s0
	v_cmp_ngt_f32_e64 s0, 0xc2ce8ed0, v83
	v_dual_sub_f32 v109, v109, v139 :: v_dual_sub_f32 v106, v106, v133
	v_add_f32_e32 v100, v100, v120
	ds_load_b128 v[46:49], v76
	ds_load_b128 v[50:53], v76 offset:16
	ds_load_b128 v[56:59], v76 offset:32
	;; [unrolled: 1-line block ×5, first 2 shown]
	v_fmac_f32_e32 v138, 0x32a5705f, v95
	v_dual_fmac_f32 v132, 0x32a5705f, v92 :: v_dual_add_f32 v101, v101, v122
	v_dual_add_f32 v102, v102, v124 :: v_dual_cndmask_b32 v113, 0, v82, s0
	v_ldexp_f32 v98, v98, v117
	v_cmp_ngt_f32_e64 s0, 0xc2ce8ed0, v84
	v_exp_f32_e32 v100, v100
	v_cvt_i32_f32_e32 v121, v121
	v_dual_add_f32 v109, v109, v138 :: v_dual_add_f32 v106, v106, v132
	s_delay_alu instid0(VALU_DEP_3)
	v_cndmask_b32_e64 v98, 0, v98, s0
	v_cmp_ngt_f32_e64 s0, 0xc2ce8ed0, v85
	v_exp_f32_e32 v101, v101
	v_cvt_i32_f32_e32 v123, v123
	v_ldexp_f32 v100, v100, v121
	v_rndne_f32_e32 v141, v110
	v_cndmask_b32_e64 v99, 0, v99, s0
	v_cmp_ngt_f32_e64 s0, 0xc2ce8ed0, v86
	v_fmac_f32_e32 v128, 0x32a5705f, v90
	v_exp_f32_e32 v102, v102
	v_cvt_i32_f32_e32 v125, v125
	v_ldexp_f32 v101, v101, v123
	v_cndmask_b32_e64 v100, 0, v100, s0
	v_cmp_ngt_f32_e64 s0, 0xc2ce8ed0, v87
	v_fma_f32 v140, 0x3fb8aa3b, v96, -v110
	v_dual_sub_f32 v110, v110, v141 :: v_dual_add_f32 v104, v104, v128
	v_exp_f32_e32 v103, v103
	v_cvt_i32_f32_e32 v127, v127
	v_ldexp_f32 v102, v102, v125
	v_cndmask_b32_e64 v101, 0, v101, s0
	v_cmp_ngt_f32_e64 s0, 0xc2ce8ed0, v88
	v_exp_f32_e32 v104, v104
	v_cvt_i32_f32_e32 v129, v129
	v_ldexp_f32 v103, v103, v127
	v_exp_f32_e32 v105, v105
	v_cndmask_b32_e64 v102, 0, v102, s0
	v_cmp_ngt_f32_e64 s0, 0xc2ce8ed0, v89
	v_cvt_i32_f32_e32 v131, v131
	v_ldexp_f32 v104, v104, v129
	v_exp_f32_e32 v106, v106
	v_cvt_i32_f32_e32 v133, v133
	v_cndmask_b32_e64 v103, 0, v103, s0
	v_cmp_ngt_f32_e64 s0, 0xc2ce8ed0, v90
	v_ldexp_f32 v105, v105, v131
	v_exp_f32_e32 v107, v107
	v_cvt_i32_f32_e32 v135, v135
	v_ldexp_f32 v106, v106, v133
	v_cndmask_b32_e64 v104, 0, v104, s0
	v_cmp_ngt_f32_e64 s0, 0xc2ce8ed0, v91
	v_cvt_i32_f32_e32 v137, v137
	v_exp_f32_e32 v109, v109
	v_ldexp_f32 v107, v107, v135
	v_cvt_i32_f32_e32 v139, v139
	v_cndmask_b32_e64 v105, 0, v105, s0
	v_cmp_nlt_f32_e64 s0, 0x42b17218, v81
	ds_load_b128 v[72:75], v76 offset:96
	ds_load_b128 v[76:79], v76 offset:112
	v_cvt_i32_f32_e32 v141, v141
	v_ldexp_f32 v109, v109, v139
	v_exp_f32_e32 v111, v111
	v_cndmask_b32_e64 v82, 0x7f800000, v112, s0
	v_cmp_nlt_f32_e64 s0, 0x42b17218, v83
	v_cvt_i32_f32_e32 v143, v143
	s_delay_alu instid0(VALU_DEP_2)
	v_cndmask_b32_e64 v83, 0x7f800000, v113, s0
	v_cmp_ngt_f32_e64 s0, 0xc2ce8ed0, v92
	s_delay_alu instid0(TRANS32_DEP_1) | instid1(VALU_DEP_3)
	v_ldexp_f32 v111, v111, v143
	s_wait_loadcnt 0x0
	s_delay_alu instid0(VALU_DEP_2) | instskip(SKIP_2) | instid1(VALU_DEP_2)
	v_dual_mul_f32 v80, v37, v55 :: v_dual_cndmask_b32 v37, 0, v106, s0
	v_cmp_nlt_f32_e64 s0, 0x42b17218, v84
	s_wait_dscnt 0x7
	v_pk_mul_f32 v[46:47], v[80:81], v[46:47] op_sel_hi:[0,1]
	v_pk_mul_f32 v[48:49], v[80:81], v[48:49] op_sel_hi:[0,1]
	s_delay_alu instid0(VALU_DEP_3) | instskip(SKIP_4) | instid1(VALU_DEP_3)
	v_cndmask_b32_e64 v84, 0x7f800000, v98, s0
	v_cmp_nlt_f32_e64 s0, 0x42b17218, v85
	s_wait_dscnt 0x6
	v_pk_mul_f32 v[50:51], v[80:81], v[50:51] op_sel_hi:[0,1]
	v_pk_fma_f32 v[26:27], v[26:27], v[82:83], v[46:47]
	v_cndmask_b32_e64 v85, 0x7f800000, v99, s0
	v_cmp_nlt_f32_e64 s0, 0x42b17218, v86
	s_wait_dscnt 0x3
	s_delay_alu instid0(VALU_DEP_3) | instskip(NEXT) | instid1(VALU_DEP_3)
	v_fma_f32 v55, v64, v26, 0
	v_pk_fma_f32 v[28:29], v[28:29], v[84:85], v[48:49]
	s_delay_alu instid0(VALU_DEP_3) | instskip(SKIP_1) | instid1(VALU_DEP_4)
	v_cndmask_b32_e64 v46, 0x7f800000, v100, s0
	v_cmp_nlt_f32_e64 s0, 0x42b17218, v87
	v_dual_fmac_f32 v55, v65, v27 :: v_dual_fmac_f32 v136, 0x32a5705f, v94
	s_delay_alu instid0(VALU_DEP_2) | instskip(SKIP_1) | instid1(VALU_DEP_3)
	v_cndmask_b32_e64 v47, 0x7f800000, v101, s0
	v_cmp_ngt_f32_e64 s0, 0xc2ce8ed0, v93
	v_fmac_f32_e32 v55, v66, v28
	s_delay_alu instid0(VALU_DEP_4) | instskip(NEXT) | instid1(VALU_DEP_4)
	v_add_f32_e32 v108, v108, v136
	v_pk_fma_f32 v[30:31], v[30:31], v[46:47], v[50:51]
	s_delay_alu instid0(VALU_DEP_4) | instskip(SKIP_1) | instid1(VALU_DEP_4)
	v_cndmask_b32_e64 v64, 0, v107, s0
	v_cmp_nlt_f32_e64 s0, 0x42b17218, v88
	v_exp_f32_e32 v108, v108
	v_fmac_f32_e32 v55, v67, v29
	s_wait_dscnt 0x2
	v_pk_mul_f32 v[50:51], v[68:69], v[30:31]
	v_pk_mul_f32 v[46:47], v[80:81], v[52:53] op_sel_hi:[0,1]
	v_cndmask_b32_e64 v48, 0x7f800000, v102, s0
	v_cmp_nlt_f32_e64 s0, 0x42b17218, v89
	v_ldexp_f32 v108, v108, v137
	v_add_f32_e32 v50, v55, v50
	v_fmac_f32_e32 v140, 0x32a5705f, v96
	s_delay_alu instid0(VALU_DEP_4) | instskip(SKIP_1) | instid1(VALU_DEP_4)
	v_cndmask_b32_e64 v49, 0x7f800000, v103, s0
	v_cmp_ngt_f32_e64 s0, 0xc2ce8ed0, v94
	v_add_f32_e32 v51, v50, v51
	s_delay_alu instid0(VALU_DEP_3) | instskip(NEXT) | instid1(VALU_DEP_3)
	v_pk_fma_f32 v[32:33], v[32:33], v[48:49], v[46:47]
	v_cndmask_b32_e64 v65, 0, v108, s0
	v_cmp_nlt_f32_e64 s0, 0x42b17218, v90
	v_pk_mul_f32 v[46:47], v[80:81], v[56:57] op_sel_hi:[0,1]
	s_delay_alu instid0(VALU_DEP_4) | instskip(NEXT) | instid1(VALU_DEP_3)
	v_pk_mul_f32 v[48:49], v[70:71], v[32:33]
	v_cndmask_b32_e64 v52, 0x7f800000, v104, s0
	v_cmp_nlt_f32_e64 s0, 0x42b17218, v91
	s_delay_alu instid0(VALU_DEP_1) | instskip(SKIP_2) | instid1(VALU_DEP_3)
	v_cndmask_b32_e64 v53, 0x7f800000, v105, s0
	v_cmp_ngt_f32_e64 s0, 0xc2ce8ed0, v95
	v_add_f32_e32 v110, v110, v140
	v_pk_fma_f32 v[42:43], v[42:43], v[52:53], v[46:47]
	s_delay_alu instid0(VALU_DEP_3) | instskip(SKIP_1) | instid1(VALU_DEP_4)
	v_cndmask_b32_e64 v55, 0, v109, s0
	v_cmp_nlt_f32_e64 s0, 0x42b17218, v92
	v_exp_f32_e32 v110, v110
	v_pk_mul_f32 v[46:47], v[80:81], v[58:59] op_sel_hi:[0,1]
	s_wait_dscnt 0x1
	v_pk_mul_f32 v[52:53], v[72:73], v[42:43]
	v_cndmask_b32_e64 v50, 0x7f800000, v37, s0
	v_cmp_nlt_f32_e64 s0, 0x42b17218, v93
	v_add_f32_e32 v37, v51, v48
	v_ldexp_f32 v110, v110, v141
	s_delay_alu instid0(VALU_DEP_3) | instskip(SKIP_1) | instid1(VALU_DEP_4)
	v_cndmask_b32_e64 v51, 0x7f800000, v64, s0
	v_cmp_ngt_f32_e64 s0, 0xc2ce8ed0, v96
	v_add_f32_e32 v37, v37, v49
	s_delay_alu instid0(VALU_DEP_3) | instskip(NEXT) | instid1(VALU_DEP_3)
	v_pk_fma_f32 v[44:45], v[44:45], v[50:51], v[46:47]
	v_cndmask_b32_e64 v56, 0, v110, s0
	v_cmp_nlt_f32_e64 s0, 0x42b17218, v94
	v_pk_mul_f32 v[46:47], v[80:81], v[60:61] op_sel_hi:[0,1]
	s_delay_alu instid0(VALU_DEP_4) | instskip(NEXT) | instid1(VALU_DEP_3)
	v_pk_mul_f32 v[50:51], v[74:75], v[44:45]
	v_cndmask_b32_e64 v48, 0x7f800000, v65, s0
	v_cmp_nlt_f32_e64 s0, 0x42b17218, v95
	s_delay_alu instid0(VALU_DEP_1) | instskip(SKIP_2) | instid1(VALU_DEP_3)
	v_cndmask_b32_e64 v49, 0x7f800000, v55, s0
	v_cmp_ngt_f32_e64 s0, 0xc2ce8ed0, v97
	v_add_f32_e32 v37, v37, v52
	v_pk_fma_f32 v[46:47], v[18:19], v[48:49], v[46:47]
	v_pk_mul_f32 v[18:19], v[80:81], v[62:63] op_sel_hi:[0,1]
	s_delay_alu instid0(VALU_DEP_3) | instskip(SKIP_3) | instid1(VALU_DEP_3)
	v_dual_add_f32 v37, v37, v53 :: v_dual_cndmask_b32 v53, 0, v111, s0
	v_cmp_nlt_f32_e64 s0, 0x42b17218, v96
	s_wait_dscnt 0x0
	v_pk_mul_f32 v[48:49], v[76:77], v[46:47]
	v_add_f32_e32 v37, v37, v50
	s_delay_alu instid0(VALU_DEP_3) | instskip(SKIP_1) | instid1(VALU_DEP_3)
	v_cndmask_b32_e64 v52, 0x7f800000, v56, s0
	v_cmp_nlt_f32_e64 s0, 0x42b17218, v97
	v_add_f32_e32 v37, v37, v51
	s_delay_alu instid0(VALU_DEP_2) | instskip(SKIP_1) | instid1(VALU_DEP_2)
	v_cndmask_b32_e64 v53, 0x7f800000, v53, s0
	s_ashr_i64 s[0:1], s[16:17], 28
	v_add_f32_e32 v37, v37, v48
	s_delay_alu instid0(VALU_DEP_2) | instskip(NEXT) | instid1(VALU_DEP_2)
	v_pk_fma_f32 v[20:21], v[20:21], v[52:53], v[18:19]
	v_add_f32_e32 v37, v37, v49
	v_add_nc_u64_e32 v[48:49], s[0:1], v[0:1]
	s_delay_alu instid0(VALU_DEP_3) | instskip(NEXT) | instid1(VALU_DEP_1)
	v_pk_mul_f32 v[18:19], v[78:79], v[20:21]
	v_add_f32_e32 v18, v37, v18
	s_delay_alu instid0(VALU_DEP_1)
	v_add_f32_e32 v18, v18, v19
	global_store_b32 v[48:49], v18, off
	s_wait_storecnt 0x0
	s_barrier_signal -1
	s_barrier_wait -1
	s_wait_xcnt 0x0
	s_and_saveexec_b32 s0, vcc_lo
	s_cbranch_execz .LBB8_22
; %bb.21:
	v_mad_nc_i64_i32 v[18:19], s8, 20, v[40:41]
	v_mad_nc_i64_i32 v[48:49], s2, 20, v[38:39]
	global_load_b32 v37, v[18:19], off
	global_load_b32 v50, v[48:49], off
	s_wait_loadcnt 0x1
	ds_store_b32 v36, v37
	s_wait_loadcnt 0x0
	ds_store_b32 v54, v50
.LBB8_22:
	s_or_b32 exec_lo, exec_lo, s0
	v_add_nc_u64_e32 v[22:23], s[14:15], v[22:23]
	s_wait_dscnt 0x0
	s_barrier_signal -1
	s_barrier_wait -1
	s_mov_b32 s1, exec_lo
	global_load_b32 v37, v[22:23], off
	s_wait_loadcnt 0x0
	v_cmpx_ge_f32_e32 0x41a00000, v37
	s_cbranch_execz .LBB8_24
; %bb.23:
	v_mul_f32_e32 v18, 0x3fb8aa3b, v37
	v_cmp_ngt_f32_e64 s0, 0xc2ce8ed0, v37
	s_delay_alu instid0(VALU_DEP_2) | instskip(SKIP_1) | instid1(VALU_DEP_2)
	v_rndne_f32_e32 v19, v18
	v_fma_f32 v48, 0x3fb8aa3b, v37, -v18
	v_sub_f32_e32 v18, v18, v19
	s_delay_alu instid0(VALU_DEP_2) | instskip(SKIP_1) | instid1(VALU_DEP_2)
	v_fmamk_f32 v48, v37, 0x32a5705f, v48
	v_cvt_i32_f32_e32 v19, v19
	v_add_f32_e32 v18, v18, v48
	s_delay_alu instid0(VALU_DEP_1) | instskip(SKIP_1) | instid1(TRANS32_DEP_1)
	v_exp_f32_e32 v18, v18
	v_nop
	v_ldexp_f32 v18, v18, v19
	s_delay_alu instid0(VALU_DEP_1) | instskip(SKIP_1) | instid1(VALU_DEP_1)
	v_cndmask_b32_e64 v18, 0, v18, s0
	v_cmp_nlt_f32_e64 s0, 0x42b17218, v37
	v_cndmask_b32_e64 v55, 0x7f800000, v18, s0
	s_delay_alu instid0(VALU_DEP_1) | instskip(NEXT) | instid1(VALU_DEP_1)
	v_add_f32_e32 v37, 1.0, v55
	v_cvt_f64_f32_e32 v[18:19], v37
	s_delay_alu instid0(VALU_DEP_1) | instskip(SKIP_1) | instid1(VALU_DEP_1)
	v_frexp_exp_i32_f64_e32 v18, v[18:19]
	v_frexp_mant_f32_e32 v19, v37
	v_cmp_gt_f32_e64 s0, 0x3f2aaaab, v19
	s_delay_alu instid0(VALU_DEP_1) | instskip(SKIP_2) | instid1(VALU_DEP_1)
	v_subrev_co_ci_u32_e64 v52, null, 0, v18, s0
	v_add_f32_e32 v18, -1.0, v37
	s_mov_b32 s0, 0x3e9b6dac
	v_dual_sub_f32 v48, v18, v37 :: v_dual_sub_nc_u32 v19, 0, v52
	s_delay_alu instid0(VALU_DEP_1) | instskip(NEXT) | instid1(VALU_DEP_1)
	v_ldexp_f32 v37, v37, v19
	v_dual_add_f32 v49, 1.0, v37 :: v_dual_add_f32 v51, -1.0, v37
	s_delay_alu instid0(VALU_DEP_3) | instskip(NEXT) | instid1(VALU_DEP_1)
	v_dual_sub_f32 v18, v55, v18 :: v_dual_add_f32 v48, 1.0, v48
	v_dual_add_f32 v18, v18, v48 :: v_dual_add_f32 v48, -1.0, v49
	s_delay_alu instid0(VALU_DEP_1) | instskip(NEXT) | instid1(VALU_DEP_2)
	v_ldexp_f32 v18, v18, v19
	v_sub_f32_e32 v19, v37, v48
	s_delay_alu instid0(VALU_DEP_1) | instskip(SKIP_1) | instid1(VALU_DEP_1)
	v_add_f32_e32 v50, v18, v19
	v_add_f32_e32 v48, 1.0, v51
	v_sub_f32_e32 v19, v37, v48
	s_delay_alu instid0(VALU_DEP_3) | instskip(NEXT) | instid1(VALU_DEP_1)
	v_add_f32_e32 v37, v49, v50
	v_rcp_f32_e32 v56, v37
	s_delay_alu instid0(VALU_DEP_2) | instskip(NEXT) | instid1(VALU_DEP_1)
	v_dual_add_f32 v53, v18, v19 :: v_dual_sub_f32 v18, v49, v37
	v_dual_add_f32 v19, v51, v53 :: v_dual_add_f32 v58, v50, v18
	s_delay_alu instid0(TRANS32_DEP_1) | instid1(VALU_DEP_1)
	v_mul_f32_e32 v57, v19, v56
	s_delay_alu instid0(VALU_DEP_1) | instskip(NEXT) | instid1(VALU_DEP_1)
	v_dual_sub_f32 v59, v51, v19 :: v_dual_mul_f32 v48, v37, v57
	v_fma_f32 v50, v57, v37, -v48
	s_delay_alu instid0(VALU_DEP_1) | instskip(NEXT) | instid1(VALU_DEP_1)
	v_fmac_f32_e32 v50, v57, v58
	v_add_f32_e32 v18, v48, v50
	s_delay_alu instid0(VALU_DEP_1) | instskip(NEXT) | instid1(VALU_DEP_1)
	v_dual_sub_f32 v49, v19, v18 :: v_dual_mov_b32 v51, v18
	v_pk_add_f32 v[18:19], v[18:19], v[48:49] neg_lo:[0,1] neg_hi:[0,1]
	v_add_f32_e32 v48, v53, v59
	s_delay_alu instid0(VALU_DEP_2) | instskip(NEXT) | instid1(VALU_DEP_1)
	v_pk_add_f32 v[18:19], v[18:19], v[50:51] neg_lo:[0,1] neg_hi:[0,1]
	v_add_f32_e32 v19, v48, v19
	s_delay_alu instid0(VALU_DEP_1) | instskip(NEXT) | instid1(VALU_DEP_1)
	v_add_f32_e32 v53, v18, v19
	v_add_f32_e32 v19, v49, v53
	s_delay_alu instid0(VALU_DEP_1) | instskip(NEXT) | instid1(VALU_DEP_1)
	v_mul_f32_e32 v59, v56, v19
	v_mul_f32_e32 v50, v37, v59
	s_delay_alu instid0(VALU_DEP_1) | instskip(NEXT) | instid1(VALU_DEP_1)
	v_fma_f32 v48, v59, v37, -v50
	v_dual_fmac_f32 v48, v59, v58 :: v_dual_sub_f32 v37, v49, v19
	s_delay_alu instid0(VALU_DEP_1) | instskip(NEXT) | instid1(VALU_DEP_1)
	v_dual_add_f32 v18, v50, v48 :: v_dual_add_f32 v37, v53, v37
	v_dual_sub_f32 v51, v19, v18 :: v_dual_mov_b32 v49, v18
	s_delay_alu instid0(VALU_DEP_1) | instskip(NEXT) | instid1(VALU_DEP_1)
	v_pk_add_f32 v[18:19], v[18:19], v[50:51] neg_lo:[0,1] neg_hi:[0,1]
	v_pk_add_f32 v[18:19], v[18:19], v[48:49] neg_lo:[0,1] neg_hi:[0,1]
	v_cvt_f32_i32_e32 v48, v52
	s_delay_alu instid0(VALU_DEP_2) | instskip(NEXT) | instid1(VALU_DEP_1)
	v_add_f32_e32 v19, v37, v19
	v_add_f32_e32 v18, v18, v19
	s_delay_alu instid0(VALU_DEP_1) | instskip(NEXT) | instid1(VALU_DEP_1)
	v_dual_add_f32 v37, v57, v59 :: v_dual_add_f32 v18, v51, v18
	v_dual_sub_f32 v19, v37, v57 :: v_dual_mul_f32 v18, v56, v18
	s_delay_alu instid0(VALU_DEP_1) | instskip(NEXT) | instid1(VALU_DEP_1)
	v_sub_f32_e32 v19, v59, v19
	v_dual_add_f32 v53, v19, v18 :: v_dual_mov_b32 v18, 0x3f317218
	s_delay_alu instid0(VALU_DEP_1) | instskip(NEXT) | instid1(VALU_DEP_1)
	v_add_f32_e32 v50, v37, v53
	v_mul_f32_e32 v19, v50, v50
	s_delay_alu instid0(VALU_DEP_1) | instskip(SKIP_2) | instid1(VALU_DEP_3)
	v_fmaak_f32 v51, s0, v19, 0x3ecc95a3
	v_dual_mul_f32 v49, v50, v19 :: v_dual_sub_f32 v37, v50, v37
	v_cmp_neq_f32_e64 s0, 0x7f800000, v55
	v_fmaak_f32 v19, v19, v51, 0x3f2aaada
	s_delay_alu instid0(VALU_DEP_1) | instskip(SKIP_1) | instid1(VALU_DEP_2)
	v_pk_mul_f32 v[18:19], v[48:49], v[18:19]
	v_ldexp_f32 v49, v50, 1
	v_fma_f32 v51, 0x3f317218, v48, -v18
	v_mov_b32_e32 v52, v18
	s_delay_alu instid0(VALU_DEP_2) | instskip(NEXT) | instid1(VALU_DEP_1)
	v_fmamk_f32 v48, v48, 0xb102e308, v51
	v_pk_add_f32 v[50:51], v[18:19], v[48:49]
	v_sub_f32_e32 v37, v53, v37
	s_delay_alu instid0(VALU_DEP_2) | instskip(NEXT) | instid1(VALU_DEP_2)
	v_sub_f32_e32 v49, v51, v49
	v_ldexp_f32 v37, v37, 1
	s_delay_alu instid0(VALU_DEP_2) | instskip(SKIP_1) | instid1(VALU_DEP_2)
	v_sub_f32_e32 v49, v19, v49
	v_pk_add_f32 v[18:19], v[50:51], v[18:19] neg_lo:[0,1] neg_hi:[0,1]
	v_dual_add_f32 v53, v37, v49 :: v_dual_mov_b32 v49, v50
	s_delay_alu instid0(VALU_DEP_1) | instskip(NEXT) | instid1(VALU_DEP_1)
	v_pk_add_f32 v[56:57], v[50:51], v[52:53]
	v_mov_b32_e32 v19, v57
	s_delay_alu instid0(VALU_DEP_1) | instskip(SKIP_2) | instid1(VALU_DEP_3)
	v_pk_add_f32 v[58:59], v[48:49], v[18:19]
	v_mov_b32_e32 v58, v57
	v_pk_add_f32 v[18:19], v[48:49], v[18:19] neg_lo:[0,1] neg_hi:[0,1]
	v_dual_mov_b32 v52, v59 :: v_dual_mov_b32 v19, v59
	s_delay_alu instid0(VALU_DEP_1) | instskip(SKIP_1) | instid1(VALU_DEP_2)
	v_pk_add_f32 v[60:61], v[52:53], v[50:51] neg_lo:[0,1] neg_hi:[0,1]
	v_dual_mov_b32 v62, v51 :: v_dual_mov_b32 v51, v50
	v_dual_mov_b32 v50, v53 :: v_dual_mov_b32 v63, v60
	v_mov_b32_e32 v37, v60
	s_delay_alu instid0(VALU_DEP_2) | instskip(NEXT) | instid1(VALU_DEP_2)
	v_pk_add_f32 v[60:61], v[58:59], v[62:63] neg_lo:[0,1] neg_hi:[0,1]
	v_pk_add_f32 v[48:49], v[56:57], v[36:37] neg_lo:[0,1] neg_hi:[0,1]
	v_mov_b32_e32 v48, v18
	s_delay_alu instid0(VALU_DEP_3) | instskip(NEXT) | instid1(VALU_DEP_1)
	v_pk_add_f32 v[50:51], v[50:51], v[60:61] neg_lo:[0,1] neg_hi:[0,1]
	v_pk_add_f32 v[48:49], v[48:49], v[50:51]
	s_delay_alu instid0(VALU_DEP_1) | instskip(NEXT) | instid1(VALU_DEP_1)
	v_mov_b32_e32 v56, v49
	v_pk_add_f32 v[56:57], v[48:49], v[56:57]
	s_delay_alu instid0(VALU_DEP_1) | instskip(NEXT) | instid1(VALU_DEP_1)
	v_pk_add_f32 v[52:53], v[52:53], v[56:57]
	v_dual_mov_b32 v51, v56 :: v_dual_mov_b32 v49, v52
	s_delay_alu instid0(VALU_DEP_1) | instskip(NEXT) | instid1(VALU_DEP_1)
	v_pk_add_f32 v[58:59], v[48:49], v[18:19] neg_lo:[0,1] neg_hi:[0,1]
	v_sub_f32_e32 v19, v48, v58
	s_delay_alu instid0(VALU_DEP_2) | instskip(NEXT) | instid1(VALU_DEP_2)
	v_pk_add_f32 v[48:49], v[50:51], v[58:59] neg_lo:[0,1] neg_hi:[0,1]
	v_sub_f32_e32 v18, v18, v19
	s_delay_alu instid0(VALU_DEP_1) | instskip(NEXT) | instid1(VALU_DEP_1)
	v_add_f32_e32 v18, v48, v18
	v_add_f32_e32 v18, v18, v49
	s_delay_alu instid0(VALU_DEP_1) | instskip(NEXT) | instid1(VALU_DEP_1)
	v_add_f32_e32 v18, v52, v18
	v_cndmask_b32_e64 v18, 0x7f800000, v18, s0
	v_cmp_gt_f32_e64 s0, 0x33800000, v55
	s_delay_alu instid0(VALU_DEP_1)
	v_cndmask_b32_e64 v37, v18, v55, s0
.LBB8_24:
	s_or_b32 exec_lo, exec_lo, s1
	v_add_nc_u64_e32 v[18:19], s[12:13], v[24:25]
	s_delay_alu instid0(VALU_DEP_2)
	v_dual_mul_f32 v25, v37, v14 :: v_dual_mov_b32 v52, 0
	v_dual_mul_f32 v53, v37, v15 :: v_dual_mul_f32 v55, v37, v16
	v_dual_mul_f32 v85, v37, v17 :: v_dual_mul_f32 v88, v37, v10
	global_load_b32 v24, v[18:19], off
	v_dual_mul_f32 v89, v37, v11 :: v_dual_mul_f32 v90, v37, v12
	v_dual_mul_f32 v95, v37, v9 :: v_dual_mul_f32 v96, v37, v2
	v_dual_mul_f32 v91, v37, v13 :: v_dual_mul_f32 v92, v37, v6
	v_dual_mul_f32 v93, v37, v7 :: v_dual_mul_f32 v94, v37, v8
	v_dual_mul_f32 v97, v37, v3 :: v_dual_mul_f32 v98, v37, v4
	s_delay_alu instid0(VALU_DEP_3)
	v_dual_mul_f32 v99, v37, v5 :: v_dual_mul_f32 v104, 0x3fb8aa3b, v91
	v_dual_mul_f32 v84, 0x3fb8aa3b, v25 :: v_dual_mul_f32 v87, 0x3fb8aa3b, v55
	;; [unrolled: 1-line block ×5, first 2 shown]
	ds_load_b128 v[48:51], v52
	ds_load_b128 v[56:59], v52 offset:16
	ds_load_b128 v[60:63], v52 offset:32
	;; [unrolled: 1-line block ×3, first 2 shown]
	v_dual_mul_f32 v102, 0x3fb8aa3b, v89 :: v_dual_mul_f32 v105, 0x3fb8aa3b, v92
	ds_load_b128 v[68:71], v52 offset:64
	ds_load_b128 v[72:75], v52 offset:80
	v_dual_mul_f32 v106, 0x3fb8aa3b, v93 :: v_dual_mul_f32 v107, 0x3fb8aa3b, v94
	v_dual_mul_f32 v110, 0x3fb8aa3b, v97 :: v_dual_mul_f32 v111, 0x3fb8aa3b, v99
	ds_load_b128 v[76:79], v52 offset:96
	ds_load_b128 v[80:83], v52 offset:112
	v_fma_f32 v112, 0x3fb8aa3b, v25, -v84
	v_rndne_f32_e32 v113, v84
	v_rndne_f32_e32 v117, v87
	v_mul_f32_e32 v52, 0x3fb8aa3b, v98
	v_fma_f32 v124, 0x3fb8aa3b, v90, -v103
	v_fma_f32 v136, 0x3fb8aa3b, v96, -v109
	v_rndne_f32_e32 v137, v109
	v_rndne_f32_e32 v115, v86
	v_fma_f32 v116, 0x3fb8aa3b, v55, -v87
	v_rndne_f32_e32 v123, v102
	v_fma_f32 v130, 0x3fb8aa3b, v93, -v106
	;; [unrolled: 2-line block ×3, first 2 shown]
	v_rndne_f32_e32 v133, v107
	v_rndne_f32_e32 v139, v110
	;; [unrolled: 1-line block ×3, first 2 shown]
	v_fmac_f32_e32 v112, 0x32a5705f, v25
	v_sub_f32_e32 v84, v84, v113
	v_sub_f32_e32 v87, v87, v117
	v_fma_f32 v140, 0x3fb8aa3b, v98, -v52
	v_rndne_f32_e32 v141, v52
	v_dual_fmac_f32 v124, 0x32a5705f, v90 :: v_dual_sub_f32 v109, v109, v137
	v_fmac_f32_e32 v136, 0x32a5705f, v96
	v_fma_f32 v114, 0x3fb8aa3b, v53, -v86
	v_rndne_f32_e32 v121, v101
	v_fma_f32 v122, 0x3fb8aa3b, v89, -v102
	v_fma_f32 v138, 0x3fb8aa3b, v97, -v110
	;; [unrolled: 1-line block ×3, first 2 shown]
	v_sub_f32_e32 v86, v86, v115
	v_dual_sub_f32 v102, v102, v123 :: v_dual_sub_f32 v107, v107, v133
	v_dual_sub_f32 v106, v106, v131 :: v_dual_sub_f32 v52, v52, v141
	v_dual_fmac_f32 v132, 0x32a5705f, v94 :: v_dual_add_f32 v109, v109, v136
	v_fmac_f32_e32 v130, 0x32a5705f, v93
	v_dual_fmac_f32 v140, 0x32a5705f, v98 :: v_dual_sub_f32 v111, v111, v143
	v_dual_sub_f32 v110, v110, v139 :: v_dual_add_f32 v84, v84, v112
	v_fma_f32 v118, 0x3fb8aa3b, v85, -v100
	v_rndne_f32_e32 v119, v100
	v_fma_f32 v120, 0x3fb8aa3b, v88, -v101
	v_rndne_f32_e32 v127, v104
	v_rndne_f32_e32 v129, v105
	v_dual_fmac_f32 v116, 0x32a5705f, v55 :: v_dual_sub_f32 v101, v101, v121
	v_dual_fmac_f32 v114, 0x32a5705f, v53 :: v_dual_add_f32 v107, v107, v132
	v_dual_add_f32 v106, v106, v130 :: v_dual_add_f32 v52, v52, v140
	v_exp_f32_e32 v84, v84
	v_rndne_f32_e32 v125, v103
	v_fma_f32 v126, 0x3fb8aa3b, v91, -v104
	v_fma_f32 v128, 0x3fb8aa3b, v92, -v105
	v_cvt_i32_f32_e32 v113, v113
	s_delay_alu instid0(VALU_DEP_4)
	v_dual_sub_f32 v100, v100, v119 :: v_dual_sub_f32 v103, v103, v125
	v_dual_fmac_f32 v120, 0x32a5705f, v88 :: v_dual_sub_f32 v105, v105, v129
	v_dual_fmac_f32 v118, 0x32a5705f, v85 :: v_dual_add_f32 v87, v87, v116
	v_dual_sub_f32 v104, v104, v127 :: v_dual_add_f32 v86, v86, v114
	v_exp_f32_e32 v52, v52
	v_cvt_i32_f32_e32 v141, v141
	v_add_f32_e32 v101, v101, v120
	v_ldexp_f32 v84, v84, v113
	v_exp_f32_e32 v86, v86
	v_cmp_ngt_f32_e64 s0, 0xc2ce8ed0, v25
	v_add_f32_e32 v100, v100, v118
	v_cvt_i32_f32_e32 v115, v115
	v_exp_f32_e32 v87, v87
	v_ldexp_f32 v112, v52, v141
	v_cndmask_b32_e64 v52, 0, v84, s0
	v_exp_f32_e32 v100, v100
	v_cvt_i32_f32_e32 v117, v117
	v_cvt_i32_f32_e32 v119, v119
	v_fmac_f32_e32 v142, 0x32a5705f, v99
	v_ldexp_f32 v86, v86, v115
	v_cmp_ngt_f32_e64 s0, 0xc2ce8ed0, v53
	v_rndne_f32_e32 v135, v108
	v_dual_fmac_f32 v122, 0x32a5705f, v89 :: v_dual_add_f32 v103, v103, v124
	v_dual_fmac_f32 v128, 0x32a5705f, v92 :: v_dual_add_f32 v111, v111, v142
	v_fmac_f32_e32 v126, 0x32a5705f, v91
	v_ldexp_f32 v87, v87, v117
	v_ldexp_f32 v100, v100, v119
	v_cndmask_b32_e64 v86, 0, v86, s0
	v_cmp_ngt_f32_e64 s0, 0xc2ce8ed0, v55
	v_fma_f32 v134, 0x3fb8aa3b, v95, -v108
	v_dual_sub_f32 v108, v108, v135 :: v_dual_add_f32 v102, v102, v122
	v_exp_f32_e32 v101, v101
	v_cvt_i32_f32_e32 v121, v121
	v_dual_add_f32 v105, v105, v128 :: v_dual_add_f32 v104, v104, v126
	v_cndmask_b32_e64 v87, 0, v87, s0
	v_cmp_ngt_f32_e64 s0, 0xc2ce8ed0, v85
	v_exp_f32_e32 v102, v102
	v_cvt_i32_f32_e32 v123, v123
	v_ldexp_f32 v101, v101, v121
	v_exp_f32_e32 v103, v103
	v_cndmask_b32_e64 v100, 0, v100, s0
	v_cmp_ngt_f32_e64 s0, 0xc2ce8ed0, v88
	v_cvt_i32_f32_e32 v125, v125
	v_ldexp_f32 v102, v102, v123
	v_exp_f32_e32 v104, v104
	v_cvt_i32_f32_e32 v127, v127
	v_cndmask_b32_e64 v101, 0, v101, s0
	v_cmp_ngt_f32_e64 s0, 0xc2ce8ed0, v89
	v_ldexp_f32 v103, v103, v125
	v_exp_f32_e32 v105, v105
	v_cvt_i32_f32_e32 v129, v129
	v_ldexp_f32 v104, v104, v127
	v_cndmask_b32_e64 v102, 0, v102, s0
	v_cmp_ngt_f32_e64 s0, 0xc2ce8ed0, v90
	v_exp_f32_e32 v106, v106
	v_cvt_i32_f32_e32 v131, v131
	v_ldexp_f32 v105, v105, v129
	v_exp_f32_e32 v107, v107
	v_cndmask_b32_e64 v103, 0, v103, s0
	v_cmp_ngt_f32_e64 s0, 0xc2ce8ed0, v91
	v_cvt_i32_f32_e32 v133, v133
	v_ldexp_f32 v106, v106, v131
	v_exp_f32_e32 v109, v109
	v_cvt_i32_f32_e32 v137, v137
	v_cndmask_b32_e64 v104, 0, v104, s0
	v_cmp_ngt_f32_e64 s0, 0xc2ce8ed0, v92
	v_ldexp_f32 v107, v107, v133
	v_cvt_i32_f32_e32 v135, v135
	v_cvt_i32_f32_e32 v139, v139
	v_ldexp_f32 v109, v109, v137
	v_cndmask_b32_e64 v105, 0, v105, s0
	v_cmp_ngt_f32_e64 s0, 0xc2ce8ed0, v93
	v_exp_f32_e32 v111, v111
	v_cvt_i32_f32_e32 v143, v143
	v_mad_nc_i64_i32 v[0:1], s6, 20, v[0:1]
	s_delay_alu instid0(VALU_DEP_3)
	v_cndmask_b32_e64 v106, 0, v106, s0
	v_cmp_nlt_f32_e64 s0, 0x42b17218, v25
	s_delay_alu instid0(TRANS32_DEP_1) | instid1(VALU_DEP_4)
	v_ldexp_f32 v111, v111, v143
	s_wait_loadcnt 0x0
	v_mul_f32_e32 v84, v37, v24
	s_delay_alu instid0(VALU_DEP_3) | instskip(SKIP_1) | instid1(VALU_DEP_1)
	v_cndmask_b32_e64 v24, 0x7f800000, v52, s0
	v_cmp_nlt_f32_e64 s0, 0x42b17218, v53
	v_cndmask_b32_e64 v25, 0x7f800000, v86, s0
	v_cmp_ngt_f32_e64 s0, 0xc2ce8ed0, v94
	s_delay_alu instid0(VALU_DEP_1) | instskip(SKIP_3) | instid1(VALU_DEP_2)
	v_cndmask_b32_e64 v37, 0, v107, s0
	s_wait_dscnt 0x7
	v_pk_mul_f32 v[48:49], v[84:85], v[48:49] op_sel_hi:[0,1]
	v_cmp_nlt_f32_e64 s0, 0x42b17218, v55
	v_pk_fma_f32 v[52:53], v[26:27], v[24:25], v[48:49]
	s_delay_alu instid0(VALU_DEP_2)
	v_cndmask_b32_e64 v86, 0x7f800000, v87, s0
	v_cmp_nlt_f32_e64 s0, 0x42b17218, v85
	v_pk_mul_f32 v[26:27], v[84:85], v[50:51] op_sel_hi:[0,1]
	s_wait_dscnt 0x6
	v_pk_mul_f32 v[48:49], v[84:85], v[56:57] op_sel_hi:[0,1]
	s_wait_dscnt 0x3
	v_fma_f32 v55, v68, v52, 0
	v_fmac_f32_e32 v134, 0x32a5705f, v95
	v_cndmask_b32_e64 v87, 0x7f800000, v100, s0
	v_cmp_nlt_f32_e64 s0, 0x42b17218, v88
	s_delay_alu instid0(VALU_DEP_3) | instskip(NEXT) | instid1(VALU_DEP_3)
	v_dual_fmac_f32 v55, v69, v53 :: v_dual_add_f32 v108, v108, v134
	v_pk_fma_f32 v[50:51], v[28:29], v[86:87], v[26:27]
	s_delay_alu instid0(VALU_DEP_3) | instskip(SKIP_1) | instid1(VALU_DEP_4)
	v_cndmask_b32_e64 v24, 0x7f800000, v101, s0
	v_cmp_nlt_f32_e64 s0, 0x42b17218, v89
	v_exp_f32_e32 v108, v108
	s_delay_alu instid0(VALU_DEP_3) | instskip(NEXT) | instid1(VALU_DEP_2)
	v_dual_fmac_f32 v55, v70, v50 :: v_dual_fmac_f32 v138, 0x32a5705f, v97
	v_cndmask_b32_e64 v25, 0x7f800000, v102, s0
	v_cmp_ngt_f32_e64 s0, 0xc2ce8ed0, v95
	s_delay_alu instid0(VALU_DEP_3) | instskip(NEXT) | instid1(TRANS32_DEP_1)
	v_fmac_f32_e32 v55, v71, v51
	v_ldexp_f32 v108, v108, v135
	v_add_f32_e32 v110, v110, v138
	v_pk_fma_f32 v[48:49], v[30:31], v[24:25], v[48:49]
	v_pk_mul_f32 v[24:25], v[84:85], v[58:59] op_sel_hi:[0,1]
	s_delay_alu instid0(VALU_DEP_4) | instskip(SKIP_4) | instid1(VALU_DEP_2)
	v_cndmask_b32_e64 v68, 0, v108, s0
	v_cmp_nlt_f32_e64 s0, 0x42b17218, v90
	v_exp_f32_e32 v110, v110
	s_wait_dscnt 0x2
	v_pk_mul_f32 v[28:29], v[72:73], v[48:49]
	v_cndmask_b32_e64 v26, 0x7f800000, v103, s0
	v_cmp_nlt_f32_e64 s0, 0x42b17218, v91
	s_delay_alu instid0(TRANS32_DEP_1) | instskip(NEXT) | instid1(VALU_DEP_2)
	v_ldexp_f32 v110, v110, v139
	v_cndmask_b32_e64 v27, 0x7f800000, v104, s0
	v_cmp_ngt_f32_e64 s0, 0xc2ce8ed0, v96
	s_delay_alu instid0(VALU_DEP_2) | instskip(NEXT) | instid1(VALU_DEP_2)
	v_pk_fma_f32 v[30:31], v[32:33], v[26:27], v[24:25]
	v_cndmask_b32_e64 v58, 0, v109, s0
	v_cmp_nlt_f32_e64 s0, 0x42b17218, v92
	v_pk_mul_f32 v[24:25], v[84:85], v[60:61] op_sel_hi:[0,1]
	s_delay_alu instid0(VALU_DEP_4) | instskip(NEXT) | instid1(VALU_DEP_3)
	v_pk_mul_f32 v[32:33], v[74:75], v[30:31]
	v_cndmask_b32_e64 v56, 0x7f800000, v105, s0
	v_cmp_nlt_f32_e64 s0, 0x42b17218, v93
	s_delay_alu instid0(VALU_DEP_1) | instskip(SKIP_1) | instid1(VALU_DEP_1)
	v_cndmask_b32_e64 v57, 0x7f800000, v106, s0
	v_cmp_ngt_f32_e64 s0, 0xc2ce8ed0, v97
	v_dual_add_f32 v26, v55, v28 :: v_dual_cndmask_b32 v55, 0, v110, s0
	v_cmp_nlt_f32_e64 s0, 0x42b17218, v94
	s_delay_alu instid0(VALU_DEP_2) | instskip(SKIP_2) | instid1(VALU_DEP_4)
	v_add_f32_e32 v29, v26, v29
	v_pk_fma_f32 v[26:27], v[42:43], v[56:57], v[24:25]
	v_pk_mul_f32 v[24:25], v[84:85], v[62:63] op_sel_hi:[0,1]
	v_cndmask_b32_e64 v28, 0x7f800000, v37, s0
	v_cmp_nlt_f32_e64 s0, 0x42b17218, v95
	s_wait_dscnt 0x1
	v_pk_mul_f32 v[42:43], v[76:77], v[26:27]
	v_add_f32_e32 v32, v29, v32
	s_delay_alu instid0(VALU_DEP_3) | instskip(SKIP_1) | instid1(VALU_DEP_3)
	v_cndmask_b32_e64 v29, 0x7f800000, v68, s0
	v_cmp_ngt_f32_e64 s0, 0xc2ce8ed0, v98
	v_add_f32_e32 v33, v32, v33
	s_delay_alu instid0(VALU_DEP_3) | instskip(NEXT) | instid1(VALU_DEP_2)
	v_pk_fma_f32 v[28:29], v[44:45], v[28:29], v[24:25]
	v_dual_cndmask_b32 v37, 0, v112, s0 :: v_dual_add_f32 v42, v33, v42
	v_cmp_nlt_f32_e64 s0, 0x42b17218, v96
	v_pk_mul_f32 v[24:25], v[84:85], v[64:65] op_sel_hi:[0,1]
	s_delay_alu instid0(VALU_DEP_4) | instskip(NEXT) | instid1(VALU_DEP_4)
	v_pk_mul_f32 v[44:45], v[78:79], v[28:29]
	v_add_f32_e32 v43, v42, v43
	s_delay_alu instid0(VALU_DEP_4) | instskip(SKIP_1) | instid1(VALU_DEP_1)
	v_cndmask_b32_e64 v32, 0x7f800000, v58, s0
	v_cmp_nlt_f32_e64 s0, 0x42b17218, v97
	v_cndmask_b32_e64 v33, 0x7f800000, v55, s0
	v_cmp_ngt_f32_e64 s0, 0xc2ce8ed0, v99
	s_delay_alu instid0(VALU_DEP_2) | instskip(NEXT) | instid1(VALU_DEP_2)
	v_pk_fma_f32 v[24:25], v[46:47], v[32:33], v[24:25]
	v_cndmask_b32_e64 v55, 0, v111, s0
	v_cmp_nlt_f32_e64 s0, 0x42b17218, v98
	v_pk_mul_f32 v[32:33], v[84:85], v[66:67] op_sel_hi:[0,1]
	s_wait_dscnt 0x0
	v_pk_mul_f32 v[46:47], v[80:81], v[24:25]
	s_delay_alu instid0(VALU_DEP_3) | instskip(SKIP_2) | instid1(VALU_DEP_2)
	v_cndmask_b32_e64 v42, 0x7f800000, v37, s0
	v_cmp_nlt_f32_e64 s0, 0x42b17218, v99
	v_add_f32_e32 v37, v43, v44
	v_cndmask_b32_e64 v43, 0x7f800000, v55, s0
	s_delay_alu instid0(VALU_DEP_2) | instskip(NEXT) | instid1(VALU_DEP_2)
	v_add_f32_e32 v37, v37, v45
	v_pk_fma_f32 v[20:21], v[20:21], v[42:43], v[32:33]
	s_delay_alu instid0(VALU_DEP_1) | instskip(NEXT) | instid1(VALU_DEP_3)
	v_pk_mul_f32 v[32:33], v[82:83], v[20:21]
	v_add_f32_e32 v37, v37, v46
	s_delay_alu instid0(VALU_DEP_1) | instskip(NEXT) | instid1(VALU_DEP_1)
	v_add_f32_e32 v37, v37, v47
	v_add_f32_e32 v32, v37, v32
	s_delay_alu instid0(VALU_DEP_1)
	v_add_f32_e32 v32, v32, v33
	global_store_b32 v[0:1], v32, off
	s_wait_storecnt 0x0
	s_barrier_signal -1
	s_barrier_wait -1
	s_wait_xcnt 0x0
	s_and_saveexec_b32 s0, vcc_lo
	s_cbranch_execz .LBB8_26
; %bb.25:
	v_mad_nc_i64_i32 v[32:33], s8, 24, v[40:41]
	v_mad_nc_i64_i32 v[38:39], s2, 24, v[38:39]
	global_load_b32 v37, v[32:33], off
	global_load_b32 v40, v[38:39], off
	s_wait_loadcnt 0x1
	ds_store_b32 v36, v37
	s_wait_loadcnt 0x0
	ds_store_b32 v54, v40
.LBB8_26:
	s_or_b32 exec_lo, exec_lo, s0
	v_add_nc_u64_e32 v[22:23], s[14:15], v[22:23]
	s_wait_dscnt 0x0
	s_barrier_signal -1
	s_barrier_wait -1
	s_mov_b32 s0, exec_lo
	global_load_b32 v22, v[22:23], off
	s_wait_loadcnt 0x0
	v_cmpx_ge_f32_e32 0x41a00000, v22
	s_cbranch_execz .LBB8_28
; %bb.27:
	v_mul_f32_e32 v23, 0x3fb8aa3b, v22
	v_cmp_ngt_f32_e32 vcc_lo, 0xc2ce8ed0, v22
	s_mov_b32 s1, 0x3e9b6dac
	s_delay_alu instid0(VALU_DEP_2) | instskip(SKIP_1) | instid1(VALU_DEP_2)
	v_rndne_f32_e32 v32, v23
	v_fma_f32 v33, 0x3fb8aa3b, v22, -v23
	v_sub_f32_e32 v23, v23, v32
	s_delay_alu instid0(VALU_DEP_2) | instskip(SKIP_1) | instid1(VALU_DEP_2)
	v_fmamk_f32 v33, v22, 0x32a5705f, v33
	v_cvt_i32_f32_e32 v32, v32
	v_add_f32_e32 v23, v23, v33
	s_delay_alu instid0(VALU_DEP_1) | instskip(SKIP_1) | instid1(TRANS32_DEP_1)
	v_exp_f32_e32 v23, v23
	v_nop
	v_ldexp_f32 v23, v23, v32
	s_delay_alu instid0(VALU_DEP_1) | instskip(SKIP_1) | instid1(VALU_DEP_2)
	v_cndmask_b32_e32 v23, 0, v23, vcc_lo
	v_cmp_nlt_f32_e32 vcc_lo, 0x42b17218, v22
	v_cndmask_b32_e32 v54, 0x7f800000, v23, vcc_lo
	s_delay_alu instid0(VALU_DEP_1) | instskip(NEXT) | instid1(VALU_DEP_1)
	v_add_f32_e32 v32, 1.0, v54
	v_cvt_f64_f32_e32 v[22:23], v32
	s_delay_alu instid0(VALU_DEP_1) | instskip(SKIP_1) | instid1(VALU_DEP_1)
	v_frexp_exp_i32_f64_e32 v22, v[22:23]
	v_frexp_mant_f32_e32 v23, v32
	v_cmp_gt_f32_e32 vcc_lo, 0x3f2aaaab, v23
	s_delay_alu instid0(VALU_DEP_3) | instskip(NEXT) | instid1(VALU_DEP_1)
	v_subrev_co_ci_u32_e64 v38, null, 0, v22, vcc_lo
	v_dual_add_f32 v22, -1.0, v32 :: v_dual_sub_nc_u32 v23, 0, v38
	v_cmp_neq_f32_e32 vcc_lo, 0x7f800000, v54
	s_delay_alu instid0(VALU_DEP_2) | instskip(SKIP_1) | instid1(VALU_DEP_4)
	v_sub_f32_e32 v33, v22, v32
	v_sub_f32_e32 v22, v54, v22
	v_ldexp_f32 v32, v32, v23
	s_delay_alu instid0(VALU_DEP_1) | instskip(NEXT) | instid1(VALU_DEP_1)
	v_dual_add_f32 v33, 1.0, v33 :: v_dual_add_f32 v37, -1.0, v32
	v_dual_add_f32 v36, 1.0, v32 :: v_dual_add_f32 v22, v22, v33
	s_delay_alu instid0(VALU_DEP_1) | instskip(NEXT) | instid1(VALU_DEP_2)
	v_add_f32_e32 v33, -1.0, v36
	v_ldexp_f32 v22, v22, v23
	s_delay_alu instid0(VALU_DEP_2) | instskip(NEXT) | instid1(VALU_DEP_1)
	v_sub_f32_e32 v23, v32, v33
	v_dual_add_f32 v33, 1.0, v37 :: v_dual_add_f32 v39, v22, v23
	s_delay_alu instid0(VALU_DEP_1) | instskip(NEXT) | instid1(VALU_DEP_2)
	v_add_f32_e32 v40, v36, v39
	v_sub_f32_e32 v23, v32, v33
	s_delay_alu instid0(VALU_DEP_1) | instskip(NEXT) | instid1(VALU_DEP_1)
	v_add_f32_e32 v41, v22, v23
	v_add_f32_e32 v23, v37, v41
	s_delay_alu instid0(VALU_DEP_4) | instskip(SKIP_1) | instid1(TRANS32_DEP_1)
	v_rcp_f32_e32 v42, v40
	v_nop
	v_dual_sub_f32 v44, v37, v23 :: v_dual_mul_f32 v43, v23, v42
	v_sub_f32_e32 v22, v36, v40
	s_delay_alu instid0(VALU_DEP_1) | instskip(NEXT) | instid1(VALU_DEP_1)
	v_dual_mul_f32 v32, v40, v43 :: v_dual_add_f32 v39, v39, v22
	v_fma_f32 v36, v43, v40, -v32
	s_delay_alu instid0(VALU_DEP_1) | instskip(NEXT) | instid1(VALU_DEP_1)
	v_fmac_f32_e32 v36, v43, v39
	v_add_f32_e32 v22, v32, v36
	s_delay_alu instid0(VALU_DEP_1) | instskip(NEXT) | instid1(VALU_DEP_1)
	v_dual_sub_f32 v33, v23, v22 :: v_dual_mov_b32 v37, v22
	v_pk_add_f32 v[22:23], v[22:23], v[32:33] neg_lo:[0,1] neg_hi:[0,1]
	v_add_f32_e32 v32, v41, v44
	s_delay_alu instid0(VALU_DEP_2) | instskip(NEXT) | instid1(VALU_DEP_1)
	v_pk_add_f32 v[22:23], v[22:23], v[36:37] neg_lo:[0,1] neg_hi:[0,1]
	v_add_f32_e32 v23, v32, v23
	s_delay_alu instid0(VALU_DEP_1) | instskip(NEXT) | instid1(VALU_DEP_1)
	v_add_f32_e32 v41, v22, v23
	v_add_f32_e32 v23, v33, v41
	s_delay_alu instid0(VALU_DEP_1) | instskip(NEXT) | instid1(VALU_DEP_1)
	v_mul_f32_e32 v44, v42, v23
	v_mul_f32_e32 v36, v40, v44
	s_delay_alu instid0(VALU_DEP_1) | instskip(NEXT) | instid1(VALU_DEP_1)
	v_fma_f32 v32, v44, v40, -v36
	v_fmac_f32_e32 v32, v44, v39
	s_delay_alu instid0(VALU_DEP_1) | instskip(NEXT) | instid1(VALU_DEP_1)
	v_dual_sub_f32 v39, v33, v23 :: v_dual_add_f32 v22, v36, v32
	v_dual_sub_f32 v37, v23, v22 :: v_dual_mov_b32 v33, v22
	s_delay_alu instid0(VALU_DEP_1) | instskip(NEXT) | instid1(VALU_DEP_3)
	v_pk_add_f32 v[22:23], v[22:23], v[36:37] neg_lo:[0,1] neg_hi:[0,1]
	v_add_f32_e32 v36, v41, v39
	s_delay_alu instid0(VALU_DEP_2) | instskip(SKIP_1) | instid1(VALU_DEP_2)
	v_pk_add_f32 v[22:23], v[22:23], v[32:33] neg_lo:[0,1] neg_hi:[0,1]
	v_cvt_f32_i32_e32 v32, v38
	v_dual_add_f32 v23, v36, v23 :: v_dual_add_f32 v36, v43, v44
	s_delay_alu instid0(VALU_DEP_1) | instskip(NEXT) | instid1(VALU_DEP_1)
	v_add_f32_e32 v22, v22, v23
	v_dual_sub_f32 v23, v36, v43 :: v_dual_add_f32 v22, v37, v22
	s_delay_alu instid0(VALU_DEP_1) | instskip(NEXT) | instid1(VALU_DEP_1)
	v_dual_sub_f32 v23, v44, v23 :: v_dual_mul_f32 v22, v42, v22
	v_dual_add_f32 v39, v23, v22 :: v_dual_mov_b32 v22, 0x3f317218
	s_delay_alu instid0(VALU_DEP_1) | instskip(NEXT) | instid1(VALU_DEP_1)
	v_add_f32_e32 v37, v36, v39
	v_mul_f32_e32 v23, v37, v37
	s_delay_alu instid0(VALU_DEP_1) | instskip(NEXT) | instid1(VALU_DEP_1)
	v_dual_fmaak_f32 v40, s1, v23, 0x3ecc95a3 :: v_dual_mul_f32 v33, v37, v23
	v_fmaak_f32 v23, v23, v40, 0x3f2aaada
	s_delay_alu instid0(VALU_DEP_1) | instskip(NEXT) | instid1(VALU_DEP_1)
	v_pk_mul_f32 v[22:23], v[32:33], v[22:23]
	v_fma_f32 v38, 0x3f317218, v32, -v22
	s_delay_alu instid0(VALU_DEP_1) | instskip(SKIP_1) | instid1(VALU_DEP_1)
	v_fmamk_f32 v32, v32, 0xb102e308, v38
	v_sub_f32_e32 v38, v37, v36
	v_sub_f32_e32 v38, v39, v38
	v_ldexp_f32 v33, v37, 1
	s_delay_alu instid0(VALU_DEP_2) | instskip(NEXT) | instid1(VALU_DEP_2)
	v_ldexp_f32 v39, v38, 1
	v_pk_add_f32 v[36:37], v[22:23], v[32:33]
	s_delay_alu instid0(VALU_DEP_1) | instskip(NEXT) | instid1(VALU_DEP_1)
	v_dual_mov_b32 v38, v22 :: v_dual_sub_f32 v33, v37, v33
	v_sub_f32_e32 v33, v23, v33
	s_delay_alu instid0(VALU_DEP_3) | instskip(NEXT) | instid1(VALU_DEP_2)
	v_pk_add_f32 v[22:23], v[36:37], v[22:23] neg_lo:[0,1] neg_hi:[0,1]
	v_dual_add_f32 v39, v39, v33 :: v_dual_mov_b32 v33, v36
	s_delay_alu instid0(VALU_DEP_1) | instskip(NEXT) | instid1(VALU_DEP_1)
	v_pk_add_f32 v[40:41], v[36:37], v[38:39]
	v_dual_mov_b32 v46, v37 :: v_dual_mov_b32 v23, v41
	s_delay_alu instid0(VALU_DEP_1) | instskip(NEXT) | instid1(VALU_DEP_1)
	v_pk_add_f32 v[42:43], v[32:33], v[22:23]
	v_dual_mov_b32 v42, v41 :: v_dual_mov_b32 v38, v43
	v_pk_add_f32 v[22:23], v[32:33], v[22:23] neg_lo:[0,1] neg_hi:[0,1]
	s_delay_alu instid0(VALU_DEP_2) | instskip(SKIP_1) | instid1(VALU_DEP_2)
	v_pk_add_f32 v[44:45], v[38:39], v[36:37] neg_lo:[0,1] neg_hi:[0,1]
	v_dual_mov_b32 v37, v36 :: v_dual_mov_b32 v36, v39
	v_dual_mov_b32 v39, v44 :: v_dual_mov_b32 v47, v44
	s_delay_alu instid0(VALU_DEP_1) | instskip(NEXT) | instid1(VALU_DEP_2)
	v_pk_add_f32 v[32:33], v[40:41], v[38:39] neg_lo:[0,1] neg_hi:[0,1]
	v_pk_add_f32 v[44:45], v[42:43], v[46:47] neg_lo:[0,1] neg_hi:[0,1]
	v_mov_b32_e32 v32, v22
	s_delay_alu instid0(VALU_DEP_2) | instskip(NEXT) | instid1(VALU_DEP_1)
	v_pk_add_f32 v[36:37], v[36:37], v[44:45] neg_lo:[0,1] neg_hi:[0,1]
	v_pk_add_f32 v[32:33], v[32:33], v[36:37]
	s_delay_alu instid0(VALU_DEP_1) | instskip(NEXT) | instid1(VALU_DEP_1)
	v_mov_b32_e32 v40, v33
	v_pk_add_f32 v[40:41], v[32:33], v[40:41]
	s_delay_alu instid0(VALU_DEP_1) | instskip(NEXT) | instid1(VALU_DEP_1)
	v_pk_add_f32 v[38:39], v[38:39], v[40:41]
	v_dual_mov_b32 v23, v43 :: v_dual_mov_b32 v33, v38
	s_delay_alu instid0(VALU_DEP_1) | instskip(NEXT) | instid1(VALU_DEP_1)
	v_pk_add_f32 v[42:43], v[32:33], v[22:23] neg_lo:[0,1] neg_hi:[0,1]
	v_sub_f32_e32 v23, v32, v42
	s_delay_alu instid0(VALU_DEP_1) | instskip(NEXT) | instid1(VALU_DEP_1)
	v_dual_mov_b32 v37, v40 :: v_dual_sub_f32 v22, v22, v23
	v_pk_add_f32 v[32:33], v[36:37], v[42:43] neg_lo:[0,1] neg_hi:[0,1]
	s_delay_alu instid0(VALU_DEP_1) | instskip(NEXT) | instid1(VALU_DEP_1)
	v_add_f32_e32 v22, v32, v22
	v_add_f32_e32 v22, v22, v33
	s_delay_alu instid0(VALU_DEP_1) | instskip(NEXT) | instid1(VALU_DEP_1)
	v_add_f32_e32 v22, v38, v22
	v_cndmask_b32_e32 v22, 0x7f800000, v22, vcc_lo
	v_cmp_gt_f32_e32 vcc_lo, 0x33800000, v54
	s_delay_alu instid0(VALU_DEP_2)
	v_cndmask_b32_e32 v22, v22, v54, vcc_lo
.LBB8_28:
	s_or_b32 exec_lo, exec_lo, s0
	v_add_nc_u64_e32 v[18:19], s[12:13], v[18:19]
	s_delay_alu instid0(VALU_DEP_2)
	v_dual_mul_f32 v32, v22, v15 :: v_dual_mul_f32 v58, v22, v16
	v_dual_mul_f32 v61, v22, v11 :: v_dual_mul_f32 v62, v22, v12
	;; [unrolled: 1-line block ×3, first 2 shown]
	global_load_b32 v18, v[18:19], off
	s_wait_xcnt 0x0
	v_dual_mul_f32 v19, v22, v14 :: v_dual_mov_b32 v23, 0
	v_dual_mul_f32 v59, v22, v17 :: v_dual_mul_f32 v60, v22, v10
	v_dual_mul_f32 v63, v22, v13 :: v_dual_mul_f32 v64, v22, v6
	s_delay_alu instid0(VALU_DEP_3)
	v_dual_mul_f32 v33, 0x3fb8aa3b, v19 :: v_dual_mul_f32 v76, 0x3fb8aa3b, v61
	v_dual_mul_f32 v67, v22, v9 :: v_dual_mul_f32 v68, v22, v2
	;; [unrolled: 1-line block ×5, first 2 shown]
	ds_load_b128 v[2:5], v23 offset:64
	ds_load_b128 v[6:9], v23 offset:80
	v_dual_mul_f32 v77, 0x3fb8aa3b, v62 :: v_dual_mul_f32 v80, 0x3fb8aa3b, v65
	ds_load_b128 v[10:13], v23 offset:96
	ds_load_b128 v[14:17], v23 offset:112
	ds_load_b128 v[36:39], v23
	ds_load_b128 v[40:43], v23 offset:16
	ds_load_b128 v[44:47], v23 offset:32
	ds_load_b128 v[54:57], v23 offset:48
	v_fma_f32 v23, 0x3fb8aa3b, v19, -v33
	v_rndne_f32_e32 v87, v33
	v_fma_f32 v88, 0x3fb8aa3b, v32, -v72
	v_rndne_f32_e32 v89, v72
	v_fma_f32 v90, 0x3fb8aa3b, v58, -v73
	v_fma_f32 v104, 0x3fb8aa3b, v65, -v80
	s_delay_alu instid0(VALU_DEP_4) | instskip(NEXT) | instid1(VALU_DEP_3)
	v_dual_fmac_f32 v23, 0x32a5705f, v19 :: v_dual_fmac_f32 v88, 0x32a5705f, v32
	v_dual_sub_f32 v33, v33, v87 :: v_dual_fmac_f32 v90, 0x32a5705f, v58
	v_dual_mul_f32 v85, 0x3fb8aa3b, v70 :: v_dual_sub_f32 v72, v72, v89
	v_fma_f32 v92, 0x3fb8aa3b, v59, -v74
	s_delay_alu instid0(VALU_DEP_3) | instskip(SKIP_1) | instid1(VALU_DEP_3)
	v_dual_fmac_f32 v104, 0x32a5705f, v65 :: v_dual_add_f32 v23, v33, v23
	v_rndne_f32_e32 v91, v73
	v_dual_add_f32 v33, v72, v88 :: v_dual_fmac_f32 v92, 0x32a5705f, v59
	v_dual_mul_f32 v75, 0x3fb8aa3b, v60 :: v_dual_mul_f32 v78, 0x3fb8aa3b, v63
	s_delay_alu instid0(VALU_DEP_4)
	v_exp_f32_e32 v23, v23
	v_dual_mul_f32 v79, 0x3fb8aa3b, v64 :: v_dual_mul_f32 v82, 0x3fb8aa3b, v67
	v_dual_mul_f32 v81, 0x3fb8aa3b, v66 :: v_dual_mul_f32 v84, 0x3fb8aa3b, v69
	;; [unrolled: 1-line block ×3, first 2 shown]
	v_rndne_f32_e32 v93, v74
	v_cvt_i32_f32_e32 v87, v87
	v_rndne_f32_e32 v105, v80
	v_sub_f32_e32 v73, v73, v91
	v_exp_f32_e32 v33, v33
	v_fma_f32 v94, 0x3fb8aa3b, v60, -v75
	v_rndne_f32_e32 v95, v75
	v_fma_f32 v96, 0x3fb8aa3b, v61, -v76
	v_rndne_f32_e32 v97, v76
	;; [unrolled: 2-line block ×8, first 2 shown]
	v_cvt_i32_f32_e32 v89, v89
	v_sub_f32_e32 v74, v74, v93
	v_ldexp_f32 v23, v23, v87
	v_cmp_ngt_f32_e32 vcc_lo, 0xc2ce8ed0, v19
	v_dual_sub_f32 v80, v80, v105 :: v_dual_add_f32 v72, v73, v90
	v_fma_f32 v112, 0x3fb8aa3b, v69, -v84
	v_rndne_f32_e32 v113, v84
	v_fma_f32 v114, 0x3fb8aa3b, v70, -v85
	v_rndne_f32_e32 v115, v85
	v_fma_f32 v116, 0x3fb8aa3b, v71, -v86
	v_rndne_f32_e32 v117, v86
	v_dual_fmac_f32 v94, 0x32a5705f, v60 :: v_dual_sub_f32 v75, v75, v95
	v_dual_fmac_f32 v96, 0x32a5705f, v61 :: v_dual_sub_f32 v77, v77, v99
	v_dual_sub_f32 v76, v76, v97 :: v_dual_sub_f32 v79, v79, v103
	v_dual_fmac_f32 v98, 0x32a5705f, v62 :: v_dual_sub_f32 v81, v81, v107
	v_dual_fmac_f32 v100, 0x32a5705f, v63 :: v_dual_add_f32 v73, v74, v92
	v_dual_sub_f32 v78, v78, v101 :: v_dual_sub_f32 v83, v83, v111
	v_dual_fmac_f32 v102, 0x32a5705f, v64 :: v_dual_sub_f32 v85, v85, v115
	v_fmac_f32_e32 v106, 0x32a5705f, v66
	v_fmac_f32_e32 v108, 0x32a5705f, v67
	v_dual_sub_f32 v82, v82, v109 :: v_dual_add_f32 v74, v75, v94
	v_dual_fmac_f32 v110, 0x32a5705f, v68 :: v_dual_cndmask_b32 v23, 0, v23
	v_ldexp_f32 v33, v33, v89
	v_cmp_ngt_f32_e32 vcc_lo, 0xc2ce8ed0, v32
	v_exp_f32_e32 v72, v72
	v_cvt_i32_f32_e32 v91, v91
	v_fmac_f32_e32 v112, 0x32a5705f, v69
	v_sub_f32_e32 v84, v84, v113
	v_dual_sub_f32 v86, v86, v117 :: v_dual_add_f32 v75, v76, v96
	v_dual_add_f32 v76, v77, v98 :: v_dual_add_f32 v77, v78, v100
	v_fmac_f32_e32 v114, 0x32a5705f, v70
	v_dual_add_f32 v78, v79, v102 :: v_dual_add_f32 v79, v80, v104
	v_fmac_f32_e32 v116, 0x32a5705f, v71
	v_dual_add_f32 v80, v81, v106 :: v_dual_add_f32 v81, v82, v108
	v_dual_add_f32 v82, v83, v110 :: v_dual_cndmask_b32 v33, 0, v33
	v_cmp_nlt_f32_e32 vcc_lo, 0x42b17218, v19
	v_ldexp_f32 v72, v72, v91
	v_exp_f32_e32 v73, v73
	v_cvt_i32_f32_e32 v93, v93
	v_add_f32_e32 v83, v84, v112
	v_exp_f32_e32 v74, v74
	v_cvt_i32_f32_e32 v95, v95
	v_exp_f32_e32 v75, v75
	v_cvt_i32_f32_e32 v97, v97
	v_ldexp_f32 v73, v73, v93
	v_exp_f32_e32 v76, v76
	v_exp_f32_e32 v78, v78
	v_ldexp_f32 v74, v74, v95
	v_cvt_i32_f32_e32 v99, v99
	v_ldexp_f32 v75, v75, v97
	v_cvt_i32_f32_e32 v103, v103
	v_exp_f32_e32 v77, v77
	v_cvt_i32_f32_e32 v101, v101
	v_ldexp_f32 v76, v76, v99
	v_exp_f32_e32 v81, v81
	v_ldexp_f32 v78, v78, v103
	v_cvt_i32_f32_e32 v109, v109
	v_exp_f32_e32 v79, v79
	v_ldexp_f32 v77, v77, v101
	v_cvt_i32_f32_e32 v105, v105
	v_cvt_i32_f32_e32 v107, v107
	v_ldexp_f32 v81, v81, v109
	v_exp_f32_e32 v82, v82
	v_cvt_i32_f32_e32 v111, v111
	v_ldexp_f32 v79, v79, v105
	v_exp_f32_e32 v83, v83
	v_cvt_i32_f32_e32 v113, v113
	v_cvt_i32_f32_e32 v115, v115
	;; [unrolled: 1-line block ×3, first 2 shown]
	v_ldexp_f32 v82, v82, v111
	s_add_nc_u64 s[0:1], s[18:19], s[4:5]
	s_mul_i32 s2, s21, s34
	v_ldexp_f32 v83, v83, v113
	s_mov_b32 s3, 0
	v_lshl_add_u64 v[0:1], s[6:7], 2, v[0:1]
	s_add_nc_u64 s[0:1], s[0:1], s[2:3]
	s_delay_alu instid0(SALU_CYCLE_1)
	s_add_nc_u64 s[0:1], s[0:1], s[10:11]
	s_wait_loadcnt 0x0
	v_mul_f32_e32 v18, v22, v18
	v_cndmask_b32_e32 v22, 0x7f800000, v23, vcc_lo
	v_cmp_nlt_f32_e32 vcc_lo, 0x42b17218, v32
	v_dual_add_f32 v84, v85, v114 :: v_dual_add_f32 v85, v86, v116
	v_exp_f32_e32 v80, v80
	v_cndmask_b32_e32 v23, 0x7f800000, v33, vcc_lo
	v_cmp_ngt_f32_e32 vcc_lo, 0xc2ce8ed0, v58
	s_wait_dscnt 0x3
	v_pk_mul_f32 v[32:33], v[18:19], v[36:37] op_sel_hi:[0,1]
	v_exp_f32_e32 v84, v84
	v_exp_f32_e32 v85, v85
	v_ldexp_f32 v80, v80, v107
	v_cndmask_b32_e32 v19, 0, v72, vcc_lo
	v_cmp_ngt_f32_e32 vcc_lo, 0xc2ce8ed0, v59
	v_pk_fma_f32 v[36:37], v[52:53], v[22:23], v[32:33]
	s_delay_alu instid0(TRANS32_DEP_2) | instskip(NEXT) | instid1(VALU_DEP_4)
	v_ldexp_f32 v84, v84, v115
	v_pk_mul_f32 v[32:33], v[18:19], v[38:39] op_sel_hi:[0,1]
	v_cndmask_b32_e32 v72, 0, v73, vcc_lo
	v_cmp_nlt_f32_e32 vcc_lo, 0x42b17218, v58
	v_fma_f32 v52, v2, v36, 0
	v_ldexp_f32 v85, v85, v117
	v_cndmask_b32_e32 v22, 0x7f800000, v19, vcc_lo
	v_cmp_nlt_f32_e32 vcc_lo, 0x42b17218, v59
	s_delay_alu instid0(VALU_DEP_4) | instskip(SKIP_1) | instid1(VALU_DEP_2)
	v_dual_fmac_f32 v52, v3, v37 :: v_dual_cndmask_b32 v23, 0x7f800000, v72
	v_cmp_ngt_f32_e32 vcc_lo, 0xc2ce8ed0, v60
	v_pk_fma_f32 v[38:39], v[50:51], v[22:23], v[32:33]
	v_cndmask_b32_e32 v2, 0, v74, vcc_lo
	v_cmp_ngt_f32_e32 vcc_lo, 0xc2ce8ed0, v61
	s_delay_alu instid0(VALU_DEP_3) | instskip(SKIP_1) | instid1(VALU_DEP_2)
	v_dual_fmac_f32 v52, v4, v38 :: v_dual_cndmask_b32 v19, 0, v75
	v_cmp_nlt_f32_e32 vcc_lo, 0x42b17218, v60
	v_fmac_f32_e32 v52, v5, v39
	s_wait_dscnt 0x2
	s_delay_alu instid0(VALU_DEP_3) | instskip(SKIP_4) | instid1(VALU_DEP_2)
	v_pk_mul_f32 v[22:23], v[18:19], v[40:41] op_sel_hi:[0,1]
	v_cndmask_b32_e32 v2, 0x7f800000, v2, vcc_lo
	v_cmp_nlt_f32_e32 vcc_lo, 0x42b17218, v61
	v_cndmask_b32_e32 v3, 0x7f800000, v19, vcc_lo
	v_cmp_ngt_f32_e32 vcc_lo, 0xc2ce8ed0, v62
	v_pk_fma_f32 v[2:3], v[48:49], v[2:3], v[22:23]
	v_cndmask_b32_e32 v4, 0, v76, vcc_lo
	v_cmp_ngt_f32_e32 vcc_lo, 0xc2ce8ed0, v63
	s_delay_alu instid0(VALU_DEP_3) | instskip(SKIP_1) | instid1(VALU_DEP_2)
	v_dual_fmac_f32 v52, v6, v2 :: v_dual_cndmask_b32 v19, 0, v77
	v_cmp_nlt_f32_e32 vcc_lo, 0x42b17218, v62
	v_fmac_f32_e32 v52, v7, v3
	s_delay_alu instid0(VALU_DEP_3) | instskip(SKIP_4) | instid1(VALU_DEP_2)
	v_pk_mul_f32 v[22:23], v[18:19], v[42:43] op_sel_hi:[0,1]
	v_cndmask_b32_e32 v4, 0x7f800000, v4, vcc_lo
	v_cmp_nlt_f32_e32 vcc_lo, 0x42b17218, v63
	v_cndmask_b32_e32 v5, 0x7f800000, v19, vcc_lo
	v_cmp_ngt_f32_e32 vcc_lo, 0xc2ce8ed0, v64
	v_pk_fma_f32 v[4:5], v[30:31], v[4:5], v[22:23]
	v_cndmask_b32_e32 v6, 0, v78, vcc_lo
	v_cmp_ngt_f32_e32 vcc_lo, 0xc2ce8ed0, v65
	s_delay_alu instid0(VALU_DEP_3) | instskip(SKIP_1) | instid1(VALU_DEP_2)
	v_dual_fmac_f32 v52, v8, v4 :: v_dual_cndmask_b32 v19, 0, v79
	v_cmp_nlt_f32_e32 vcc_lo, 0x42b17218, v64
	v_fmac_f32_e32 v52, v9, v5
	v_cndmask_b32_e32 v6, 0x7f800000, v6, vcc_lo
	v_cmp_nlt_f32_e32 vcc_lo, 0x42b17218, v65
	v_cndmask_b32_e32 v7, 0x7f800000, v19, vcc_lo
	v_cmp_ngt_f32_e32 vcc_lo, 0xc2ce8ed0, v66
	v_cndmask_b32_e32 v8, 0, v80, vcc_lo
	v_cmp_ngt_f32_e32 vcc_lo, 0xc2ce8ed0, v67
	s_wait_dscnt 0x1
	v_pk_mul_f32 v[22:23], v[18:19], v[44:45] op_sel_hi:[0,1]
	v_cndmask_b32_e32 v19, 0, v81, vcc_lo
	v_cmp_nlt_f32_e32 vcc_lo, 0x42b17218, v66
	s_delay_alu instid0(VALU_DEP_3) | instskip(NEXT) | instid1(VALU_DEP_3)
	v_pk_fma_f32 v[6:7], v[26:27], v[6:7], v[22:23]
	v_pk_mul_f32 v[22:23], v[18:19], v[46:47] op_sel_hi:[0,1]
	v_cndmask_b32_e32 v8, 0x7f800000, v8, vcc_lo
	v_cmp_nlt_f32_e32 vcc_lo, 0x42b17218, v67
	s_delay_alu instid0(VALU_DEP_4) | instskip(SKIP_1) | instid1(VALU_DEP_2)
	v_dual_fmac_f32 v52, v10, v6 :: v_dual_cndmask_b32 v9, 0x7f800000, v19
	v_cmp_ngt_f32_e32 vcc_lo, 0xc2ce8ed0, v68
	v_fmac_f32_e32 v52, v11, v7
	s_delay_alu instid0(VALU_DEP_3) | instskip(SKIP_2) | instid1(VALU_DEP_3)
	v_pk_fma_f32 v[8:9], v[28:29], v[8:9], v[22:23]
	v_cndmask_b32_e32 v10, 0, v82, vcc_lo
	v_cmp_ngt_f32_e32 vcc_lo, 0xc2ce8ed0, v69
	v_dual_fmac_f32 v52, v12, v8 :: v_dual_cndmask_b32 v19, 0, v83
	v_cmp_nlt_f32_e32 vcc_lo, 0x42b17218, v68
	s_delay_alu instid0(VALU_DEP_2) | instskip(SKIP_1) | instid1(VALU_DEP_3)
	v_fmac_f32_e32 v52, v13, v9
	s_wait_dscnt 0x0
	v_pk_mul_f32 v[22:23], v[18:19], v[54:55] op_sel_hi:[0,1]
	v_cndmask_b32_e32 v10, 0x7f800000, v10, vcc_lo
	v_cmp_nlt_f32_e32 vcc_lo, 0x42b17218, v69
	v_cndmask_b32_e32 v11, 0x7f800000, v19, vcc_lo
	v_cmp_ngt_f32_e32 vcc_lo, 0xc2ce8ed0, v70
	s_delay_alu instid0(VALU_DEP_2) | instskip(SKIP_2) | instid1(VALU_DEP_3)
	v_pk_fma_f32 v[10:11], v[24:25], v[10:11], v[22:23]
	v_cndmask_b32_e32 v12, 0, v84, vcc_lo
	v_cmp_ngt_f32_e32 vcc_lo, 0xc2ce8ed0, v71
	v_dual_fmac_f32 v52, v14, v10 :: v_dual_cndmask_b32 v19, 0, v85
	v_cmp_nlt_f32_e32 vcc_lo, 0x42b17218, v70
	s_delay_alu instid0(VALU_DEP_2)
	v_fmac_f32_e32 v52, v15, v11
	v_lshl_add_u64 v[14:15], v[34:35], 2, s[0:1]
	v_cndmask_b32_e32 v12, 0x7f800000, v12, vcc_lo
	v_cmp_nlt_f32_e32 vcc_lo, 0x42b17218, v71
	v_cndmask_b32_e32 v13, 0x7f800000, v19, vcc_lo
	v_pk_mul_f32 v[18:19], v[18:19], v[56:57] op_sel_hi:[0,1]
	s_delay_alu instid0(VALU_DEP_1) | instskip(NEXT) | instid1(VALU_DEP_1)
	v_pk_fma_f32 v[12:13], v[20:21], v[12:13], v[18:19]
	v_fmac_f32_e32 v52, v16, v12
	s_delay_alu instid0(VALU_DEP_1)
	v_fmac_f32_e32 v52, v17, v13
	global_store_b32 v[0:1], v52, off
	s_wait_storecnt 0x0
	s_barrier_signal -1
	s_barrier_wait -1
	s_clause 0x3
	global_store_b128 v[14:15], v[36:39], off
	global_store_b128 v[14:15], v[2:5], off offset:16
	global_store_b128 v[14:15], v[6:9], off offset:32
	global_store_b128 v[14:15], v[10:13], off offset:48
	s_sendmsg sendmsg(MSG_DEALLOC_VGPRS)
	s_endpgm
	.section	.rodata,"a",@progbits
	.p2align	6, 0x0
	.amdhsa_kernel _Z12ssm_scan_f32ILm128ELm16ELm7EEvPKfS1_S1_S1_S1_S1_PKiPfiiiiiiiiiiilll
		.amdhsa_group_segment_fixed_size 128
		.amdhsa_private_segment_fixed_size 0
		.amdhsa_kernarg_size 136
		.amdhsa_user_sgpr_count 2
		.amdhsa_user_sgpr_dispatch_ptr 0
		.amdhsa_user_sgpr_queue_ptr 0
		.amdhsa_user_sgpr_kernarg_segment_ptr 1
		.amdhsa_user_sgpr_dispatch_id 0
		.amdhsa_user_sgpr_kernarg_preload_length 0
		.amdhsa_user_sgpr_kernarg_preload_offset 0
		.amdhsa_user_sgpr_private_segment_size 0
		.amdhsa_wavefront_size32 1
		.amdhsa_uses_dynamic_stack 0
		.amdhsa_enable_private_segment 0
		.amdhsa_system_sgpr_workgroup_id_x 1
		.amdhsa_system_sgpr_workgroup_id_y 1
		.amdhsa_system_sgpr_workgroup_id_z 0
		.amdhsa_system_sgpr_workgroup_info 0
		.amdhsa_system_vgpr_workitem_id 0
		.amdhsa_next_free_vgpr 144
		.amdhsa_next_free_sgpr 36
		.amdhsa_named_barrier_count 0
		.amdhsa_reserve_vcc 1
		.amdhsa_float_round_mode_32 0
		.amdhsa_float_round_mode_16_64 0
		.amdhsa_float_denorm_mode_32 3
		.amdhsa_float_denorm_mode_16_64 3
		.amdhsa_fp16_overflow 0
		.amdhsa_memory_ordered 1
		.amdhsa_forward_progress 1
		.amdhsa_inst_pref_size 179
		.amdhsa_round_robin_scheduling 0
		.amdhsa_exception_fp_ieee_invalid_op 0
		.amdhsa_exception_fp_denorm_src 0
		.amdhsa_exception_fp_ieee_div_zero 0
		.amdhsa_exception_fp_ieee_overflow 0
		.amdhsa_exception_fp_ieee_underflow 0
		.amdhsa_exception_fp_ieee_inexact 0
		.amdhsa_exception_int_div_zero 0
	.end_amdhsa_kernel
	.section	.text._Z12ssm_scan_f32ILm128ELm16ELm7EEvPKfS1_S1_S1_S1_S1_PKiPfiiiiiiiiiiilll,"axG",@progbits,_Z12ssm_scan_f32ILm128ELm16ELm7EEvPKfS1_S1_S1_S1_S1_PKiPfiiiiiiiiiiilll,comdat
.Lfunc_end8:
	.size	_Z12ssm_scan_f32ILm128ELm16ELm7EEvPKfS1_S1_S1_S1_S1_PKiPfiiiiiiiiiiilll, .Lfunc_end8-_Z12ssm_scan_f32ILm128ELm16ELm7EEvPKfS1_S1_S1_S1_S1_PKiPfiiiiiiiiiiilll
                                        ; -- End function
	.set _Z12ssm_scan_f32ILm128ELm16ELm7EEvPKfS1_S1_S1_S1_S1_PKiPfiiiiiiiiiiilll.num_vgpr, 144
	.set _Z12ssm_scan_f32ILm128ELm16ELm7EEvPKfS1_S1_S1_S1_S1_PKiPfiiiiiiiiiiilll.num_agpr, 0
	.set _Z12ssm_scan_f32ILm128ELm16ELm7EEvPKfS1_S1_S1_S1_S1_PKiPfiiiiiiiiiiilll.numbered_sgpr, 36
	.set _Z12ssm_scan_f32ILm128ELm16ELm7EEvPKfS1_S1_S1_S1_S1_PKiPfiiiiiiiiiiilll.num_named_barrier, 0
	.set _Z12ssm_scan_f32ILm128ELm16ELm7EEvPKfS1_S1_S1_S1_S1_PKiPfiiiiiiiiiiilll.private_seg_size, 0
	.set _Z12ssm_scan_f32ILm128ELm16ELm7EEvPKfS1_S1_S1_S1_S1_PKiPfiiiiiiiiiiilll.uses_vcc, 1
	.set _Z12ssm_scan_f32ILm128ELm16ELm7EEvPKfS1_S1_S1_S1_S1_PKiPfiiiiiiiiiiilll.uses_flat_scratch, 0
	.set _Z12ssm_scan_f32ILm128ELm16ELm7EEvPKfS1_S1_S1_S1_S1_PKiPfiiiiiiiiiiilll.has_dyn_sized_stack, 0
	.set _Z12ssm_scan_f32ILm128ELm16ELm7EEvPKfS1_S1_S1_S1_S1_PKiPfiiiiiiiiiiilll.has_recursion, 0
	.set _Z12ssm_scan_f32ILm128ELm16ELm7EEvPKfS1_S1_S1_S1_S1_PKiPfiiiiiiiiiiilll.has_indirect_call, 0
	.section	.AMDGPU.csdata,"",@progbits
; Kernel info:
; codeLenInByte = 22832
; TotalNumSgprs: 38
; NumVgprs: 144
; ScratchSize: 0
; MemoryBound: 0
; FloatMode: 240
; IeeeMode: 1
; LDSByteSize: 128 bytes/workgroup (compile time only)
; SGPRBlocks: 0
; VGPRBlocks: 8
; NumSGPRsForWavesPerEU: 38
; NumVGPRsForWavesPerEU: 144
; NamedBarCnt: 0
; Occupancy: 7
; WaveLimiterHint : 1
; COMPUTE_PGM_RSRC2:SCRATCH_EN: 0
; COMPUTE_PGM_RSRC2:USER_SGPR: 2
; COMPUTE_PGM_RSRC2:TRAP_HANDLER: 0
; COMPUTE_PGM_RSRC2:TGID_X_EN: 1
; COMPUTE_PGM_RSRC2:TGID_Y_EN: 1
; COMPUTE_PGM_RSRC2:TGID_Z_EN: 0
; COMPUTE_PGM_RSRC2:TIDIG_COMP_CNT: 0
	.section	.text._Z12ssm_scan_f32ILm128ELm16ELm8EEvPKfS1_S1_S1_S1_S1_PKiPfiiiiiiiiiiilll,"axG",@progbits,_Z12ssm_scan_f32ILm128ELm16ELm8EEvPKfS1_S1_S1_S1_S1_PKiPfiiiiiiiiiiilll,comdat
	.protected	_Z12ssm_scan_f32ILm128ELm16ELm8EEvPKfS1_S1_S1_S1_S1_PKiPfiiiiiiiiiiilll ; -- Begin function _Z12ssm_scan_f32ILm128ELm16ELm8EEvPKfS1_S1_S1_S1_S1_PKiPfiiiiiiiiiiilll
	.globl	_Z12ssm_scan_f32ILm128ELm16ELm8EEvPKfS1_S1_S1_S1_S1_PKiPfiiiiiiiiiiilll
	.p2align	8
	.type	_Z12ssm_scan_f32ILm128ELm16ELm8EEvPKfS1_S1_S1_S1_S1_PKiPfiiiiiiiiiiilll,@function
_Z12ssm_scan_f32ILm128ELm16ELm8EEvPKfS1_S1_S1_S1_S1_PKiPfiiiiiiiiiiilll: ; @_Z12ssm_scan_f32ILm128ELm16ELm8EEvPKfS1_S1_S1_S1_S1_PKiPfiiiiiiiiiiilll
; %bb.0:
	s_clause 0x1
	s_load_b512 s[4:19], s[0:1], 0x0
	s_load_b256 s[20:27], s[0:1], 0x40
	s_bfe_u32 s3, ttmp6, 0x4000c
	s_bfe_u32 s28, ttmp6, 0x40010
	s_add_co_i32 s3, s3, 1
	s_add_co_i32 s28, s28, 1
	s_and_b32 s2, ttmp6, 15
	s_bfe_u32 s29, ttmp6, 0x40004
	s_mul_i32 s3, ttmp9, s3
	s_mul_i32 s28, ttmp7, s28
	s_getreg_b32 s30, hwreg(HW_REG_IB_STS2, 6, 4)
	s_add_co_i32 s2, s2, s3
	s_add_co_i32 s29, s29, s28
	s_cmp_eq_u32 s30, 0
	s_mov_b32 s35, 0
	s_cselect_b32 s34, ttmp9, s2
	s_cselect_b32 s2, ttmp7, s29
	v_mov_b32_e32 v35, 0
	v_cmp_gt_u32_e32 vcc_lo, 16, v0
	s_wait_kmcnt 0x0
	s_load_b32 s30, s[16:17], s34 offset:0x0 scale_offset
	s_ashr_i32 s3, s26, 2
	s_ashr_i32 s29, s26, 31
	v_mul_lo_u32 v34, s3, v0
	s_mov_b32 s3, s35
	s_mov_b32 s28, s26
	s_wait_xcnt 0x0
	s_lshl_b64 s[16:17], s[2:3], 7
	s_ashr_i32 s26, s20, 2
	s_mul_u64 s[28:29], s[16:17], s[28:29]
	s_delay_alu instid0(SALU_CYCLE_1)
	s_add_nc_u64 s[10:11], s[10:11], s[28:29]
	s_delay_alu instid0(VALU_DEP_1) | instid1(SALU_CYCLE_1)
	v_lshl_add_u64 v[36:37], v[34:35], 2, s[10:11]
	v_mul_lo_u32 v34, s26, v0
	s_ashr_i32 s11, s20, 31
	s_mov_b32 s10, s20
	s_delay_alu instid0(SALU_CYCLE_1) | instskip(SKIP_4) | instid1(SALU_CYCLE_1)
	s_mul_u64 s[10:11], s[16:17], s[10:11]
	s_wait_kmcnt 0x0
	s_mul_i32 s28, s30, s21
	s_mov_b32 s17, s35
	s_ashr_i32 s29, s28, 31
	s_add_nc_u64 s[4:5], s[4:5], s[28:29]
	s_load_b96 s[28:30], s[0:1], 0x60
	s_add_nc_u64 s[4:5], s[4:5], s[10:11]
	s_delay_alu instid0(SALU_CYCLE_1)
	v_lshl_add_u64 v[38:39], v[34:35], 2, s[4:5]
	s_clause 0x3
	global_load_b128 v[2:5], v[36:37], off offset:48
	global_load_b128 v[6:9], v[36:37], off offset:32
	;; [unrolled: 1-line block ×3, first 2 shown]
	global_load_b128 v[14:17], v[36:37], off
	s_clause 0x3
	global_load_b128 v[18:21], v[38:39], off offset:48
	global_load_b128 v[22:25], v[38:39], off offset:32
	;; [unrolled: 1-line block ×3, first 2 shown]
	global_load_b128 v[30:33], v[38:39], off
	s_wait_xcnt 0x4
	v_dual_mov_b32 v37, v35 :: v_dual_lshlrev_b32 v36, 2, v0
	s_mov_b32 s5, s35
	s_delay_alu instid0(VALU_DEP_1)
	v_add_nc_u32_e32 v54, 64, v36
	s_wait_kmcnt 0x0
	s_mul_i32 s4, s28, s34
	s_mul_i32 s16, s30, s34
	s_add_nc_u64 s[4:5], s[12:13], s[4:5]
	s_add_nc_u64 s[12:13], s[14:15], s[16:17]
	v_add_nc_u64_e32 v[40:41], s[4:5], v[36:37]
	s_wait_xcnt 0x0
	v_add_nc_u64_e32 v[38:39], s[12:13], v[36:37]
	s_and_saveexec_b32 s4, vcc_lo
	s_cbranch_execz .LBB9_2
; %bb.1:
	global_load_b32 v1, v[40:41], off
	global_load_b32 v42, v[38:39], off
	s_wait_loadcnt 0x1
	ds_store_b32 v36, v1
	s_wait_loadcnt 0x0
	ds_store_b32 v54, v42
.LBB9_2:
	s_or_b32 exec_lo, exec_lo, s4
	s_mul_i32 s4, s25, s34
	s_mov_b32 s5, s35
	s_lshl_b64 s[12:13], s[2:3], 9
	s_add_nc_u64 s[2:3], s[8:9], s[4:5]
	s_wait_loadcnt_dscnt 0x0
	s_add_nc_u64 s[4:5], s[2:3], s[12:13]
	s_barrier_signal -1
	s_barrier_wait -1
	global_load_b32 v1, v0, s[4:5] scale_offset
	s_mov_b32 s3, exec_lo
	s_wait_loadcnt 0x0
	v_cmpx_ge_f32_e32 0x41a00000, v1
	s_cbranch_execz .LBB9_4
; %bb.3:
	v_mul_f32_e32 v42, 0x3fb8aa3b, v1
	v_cmp_ngt_f32_e64 s2, 0xc2ce8ed0, v1
	s_delay_alu instid0(VALU_DEP_2) | instskip(SKIP_1) | instid1(VALU_DEP_2)
	v_rndne_f32_e32 v43, v42
	v_fma_f32 v44, 0x3fb8aa3b, v1, -v42
	v_sub_f32_e32 v42, v42, v43
	s_delay_alu instid0(VALU_DEP_2) | instskip(SKIP_1) | instid1(VALU_DEP_2)
	v_fmamk_f32 v44, v1, 0x32a5705f, v44
	v_cvt_i32_f32_e32 v43, v43
	v_add_f32_e32 v42, v42, v44
	s_delay_alu instid0(VALU_DEP_1) | instskip(SKIP_1) | instid1(TRANS32_DEP_1)
	v_exp_f32_e32 v42, v42
	v_nop
	v_ldexp_f32 v42, v42, v43
	s_delay_alu instid0(VALU_DEP_1) | instskip(SKIP_1) | instid1(VALU_DEP_1)
	v_cndmask_b32_e64 v42, 0, v42, s2
	v_cmp_nlt_f32_e64 s2, 0x42b17218, v1
	v_cndmask_b32_e64 v55, 0x7f800000, v42, s2
	s_delay_alu instid0(VALU_DEP_1) | instskip(NEXT) | instid1(VALU_DEP_1)
	v_add_f32_e32 v1, 1.0, v55
	v_cvt_f64_f32_e32 v[42:43], v1
	s_delay_alu instid0(VALU_DEP_1) | instskip(SKIP_1) | instid1(VALU_DEP_1)
	v_frexp_exp_i32_f64_e32 v42, v[42:43]
	v_frexp_mant_f32_e32 v43, v1
	v_cmp_gt_f32_e64 s2, 0x3f2aaaab, v43
	s_delay_alu instid0(VALU_DEP_1) | instskip(SKIP_2) | instid1(VALU_DEP_1)
	v_subrev_co_ci_u32_e64 v48, null, 0, v42, s2
	v_add_f32_e32 v42, -1.0, v1
	s_mov_b32 s2, 0x3e9b6dac
	v_dual_sub_f32 v44, v42, v1 :: v_dual_sub_nc_u32 v43, 0, v48
	s_delay_alu instid0(VALU_DEP_1) | instskip(NEXT) | instid1(VALU_DEP_1)
	v_ldexp_f32 v1, v1, v43
	v_dual_add_f32 v45, 1.0, v1 :: v_dual_add_f32 v47, -1.0, v1
	s_delay_alu instid0(VALU_DEP_3) | instskip(NEXT) | instid1(VALU_DEP_1)
	v_dual_sub_f32 v42, v55, v42 :: v_dual_add_f32 v44, 1.0, v44
	v_dual_add_f32 v42, v42, v44 :: v_dual_add_f32 v44, -1.0, v45
	s_delay_alu instid0(VALU_DEP_1) | instskip(NEXT) | instid1(VALU_DEP_2)
	v_ldexp_f32 v42, v42, v43
	v_sub_f32_e32 v43, v1, v44
	s_delay_alu instid0(VALU_DEP_1) | instskip(NEXT) | instid1(VALU_DEP_1)
	v_add_f32_e32 v46, v42, v43
	v_dual_add_f32 v44, 1.0, v47 :: v_dual_add_f32 v49, v45, v46
	s_delay_alu instid0(VALU_DEP_1) | instskip(NEXT) | instid1(VALU_DEP_2)
	v_sub_f32_e32 v1, v1, v44
	v_rcp_f32_e32 v50, v49
	s_delay_alu instid0(VALU_DEP_1) | instskip(NEXT) | instid1(VALU_DEP_1)
	v_add_f32_e32 v1, v42, v1
	v_add_f32_e32 v43, v47, v1
	s_delay_alu instid0(TRANS32_DEP_1) | instid1(VALU_DEP_1)
	v_mul_f32_e32 v51, v43, v50
	s_delay_alu instid0(VALU_DEP_1) | instskip(SKIP_1) | instid1(VALU_DEP_1)
	v_mul_f32_e32 v44, v49, v51
	v_dual_sub_f32 v42, v45, v49 :: v_dual_sub_f32 v53, v47, v43
	v_dual_add_f32 v52, v46, v42 :: v_dual_fma_f32 v46, v51, v49, -v44
	s_delay_alu instid0(VALU_DEP_1) | instskip(NEXT) | instid1(VALU_DEP_1)
	v_dual_add_f32 v1, v1, v53 :: v_dual_fmac_f32 v46, v51, v52
	v_add_f32_e32 v42, v44, v46
	s_delay_alu instid0(VALU_DEP_1) | instskip(NEXT) | instid1(VALU_DEP_1)
	v_dual_sub_f32 v45, v43, v42 :: v_dual_mov_b32 v47, v42
	v_pk_add_f32 v[42:43], v[42:43], v[44:45] neg_lo:[0,1] neg_hi:[0,1]
	s_delay_alu instid0(VALU_DEP_1) | instskip(NEXT) | instid1(VALU_DEP_1)
	v_pk_add_f32 v[42:43], v[42:43], v[46:47] neg_lo:[0,1] neg_hi:[0,1]
	v_add_f32_e32 v1, v1, v43
	s_delay_alu instid0(VALU_DEP_1) | instskip(NEXT) | instid1(VALU_DEP_1)
	v_add_f32_e32 v1, v42, v1
	v_add_f32_e32 v43, v45, v1
	s_delay_alu instid0(VALU_DEP_1) | instskip(NEXT) | instid1(VALU_DEP_1)
	v_mul_f32_e32 v53, v50, v43
	v_mul_f32_e32 v46, v49, v53
	s_delay_alu instid0(VALU_DEP_1) | instskip(SKIP_1) | instid1(VALU_DEP_2)
	v_fma_f32 v44, v53, v49, -v46
	v_sub_f32_e32 v49, v45, v43
	v_fmac_f32_e32 v44, v53, v52
	s_delay_alu instid0(VALU_DEP_1) | instskip(NEXT) | instid1(VALU_DEP_1)
	v_add_f32_e32 v42, v46, v44
	v_dual_mov_b32 v45, v42 :: v_dual_sub_f32 v47, v43, v42
	s_delay_alu instid0(VALU_DEP_1) | instskip(SKIP_2) | instid1(VALU_DEP_3)
	v_pk_add_f32 v[42:43], v[42:43], v[46:47] neg_lo:[0,1] neg_hi:[0,1]
	v_add_f32_e32 v46, v51, v53
	v_add_f32_e32 v1, v1, v49
	v_pk_add_f32 v[42:43], v[42:43], v[44:45] neg_lo:[0,1] neg_hi:[0,1]
	v_cvt_f32_i32_e32 v44, v48
	s_delay_alu instid0(VALU_DEP_2) | instskip(NEXT) | instid1(VALU_DEP_1)
	v_add_f32_e32 v1, v1, v43
	v_add_f32_e32 v1, v42, v1
	v_sub_f32_e32 v42, v46, v51
	s_delay_alu instid0(VALU_DEP_1) | instskip(NEXT) | instid1(VALU_DEP_1)
	v_dual_sub_f32 v42, v53, v42 :: v_dual_add_f32 v1, v47, v1
	v_mul_f32_e32 v1, v50, v1
	s_delay_alu instid0(VALU_DEP_1) | instskip(NEXT) | instid1(VALU_DEP_1)
	v_dual_add_f32 v1, v42, v1 :: v_dual_mov_b32 v42, 0x3f317218
	v_add_f32_e32 v47, v46, v1
	s_delay_alu instid0(VALU_DEP_1) | instskip(NEXT) | instid1(VALU_DEP_1)
	v_mul_f32_e32 v43, v47, v47
	v_fmaak_f32 v49, s2, v43, 0x3ecc95a3
	v_mul_f32_e32 v45, v47, v43
	v_cmp_neq_f32_e64 s2, 0x7f800000, v55
	s_delay_alu instid0(VALU_DEP_3) | instskip(NEXT) | instid1(VALU_DEP_1)
	v_fmaak_f32 v43, v43, v49, 0x3f2aaada
	v_pk_mul_f32 v[42:43], v[44:45], v[42:43]
	s_delay_alu instid0(VALU_DEP_1) | instskip(NEXT) | instid1(VALU_DEP_1)
	v_fma_f32 v48, 0x3f317218, v44, -v42
	v_fmamk_f32 v44, v44, 0xb102e308, v48
	v_sub_f32_e32 v48, v47, v46
	s_delay_alu instid0(VALU_DEP_1) | instskip(SKIP_2) | instid1(VALU_DEP_3)
	v_sub_f32_e32 v1, v1, v48
	v_ldexp_f32 v45, v47, 1
	v_mov_b32_e32 v48, v42
	v_ldexp_f32 v1, v1, 1
	s_delay_alu instid0(VALU_DEP_3) | instskip(NEXT) | instid1(VALU_DEP_1)
	v_pk_add_f32 v[46:47], v[42:43], v[44:45]
	v_dual_sub_f32 v45, v47, v45 :: v_dual_mov_b32 v58, v47
	s_delay_alu instid0(VALU_DEP_1) | instskip(NEXT) | instid1(VALU_DEP_3)
	v_sub_f32_e32 v45, v43, v45
	v_pk_add_f32 v[42:43], v[46:47], v[42:43] neg_lo:[0,1] neg_hi:[0,1]
	s_delay_alu instid0(VALU_DEP_2) | instskip(NEXT) | instid1(VALU_DEP_1)
	v_dual_add_f32 v49, v1, v45 :: v_dual_mov_b32 v45, v46
	v_pk_add_f32 v[50:51], v[46:47], v[48:49]
	s_delay_alu instid0(VALU_DEP_1) | instskip(NEXT) | instid1(VALU_DEP_1)
	v_mov_b32_e32 v43, v51
	v_pk_add_f32 v[52:53], v[44:45], v[42:43]
	v_mov_b32_e32 v52, v51
	v_pk_add_f32 v[42:43], v[44:45], v[42:43] neg_lo:[0,1] neg_hi:[0,1]
	s_delay_alu instid0(VALU_DEP_3) | instskip(NEXT) | instid1(VALU_DEP_1)
	v_dual_mov_b32 v48, v53 :: v_dual_mov_b32 v43, v53
	v_pk_add_f32 v[56:57], v[48:49], v[46:47] neg_lo:[0,1] neg_hi:[0,1]
	v_dual_mov_b32 v47, v46 :: v_dual_mov_b32 v46, v49
	s_delay_alu instid0(VALU_DEP_2) | instskip(NEXT) | instid1(VALU_DEP_1)
	v_dual_mov_b32 v59, v56 :: v_dual_mov_b32 v1, v56
	v_pk_add_f32 v[56:57], v[52:53], v[58:59] neg_lo:[0,1] neg_hi:[0,1]
	s_delay_alu instid0(VALU_DEP_2) | instskip(SKIP_1) | instid1(VALU_DEP_3)
	v_pk_add_f32 v[44:45], v[50:51], v[0:1] neg_lo:[0,1] neg_hi:[0,1]
	v_mov_b32_e32 v44, v42
	v_pk_add_f32 v[46:47], v[46:47], v[56:57] neg_lo:[0,1] neg_hi:[0,1]
	s_delay_alu instid0(VALU_DEP_1) | instskip(NEXT) | instid1(VALU_DEP_1)
	v_pk_add_f32 v[44:45], v[44:45], v[46:47]
	v_mov_b32_e32 v50, v45
	s_delay_alu instid0(VALU_DEP_1) | instskip(NEXT) | instid1(VALU_DEP_1)
	v_pk_add_f32 v[50:51], v[44:45], v[50:51]
	v_pk_add_f32 v[48:49], v[48:49], v[50:51]
	s_delay_alu instid0(VALU_DEP_1) | instskip(NEXT) | instid1(VALU_DEP_1)
	v_dual_mov_b32 v47, v50 :: v_dual_mov_b32 v45, v48
	v_pk_add_f32 v[52:53], v[44:45], v[42:43] neg_lo:[0,1] neg_hi:[0,1]
	s_delay_alu instid0(VALU_DEP_1) | instskip(NEXT) | instid1(VALU_DEP_2)
	v_sub_f32_e32 v1, v44, v52
	v_pk_add_f32 v[44:45], v[46:47], v[52:53] neg_lo:[0,1] neg_hi:[0,1]
	s_delay_alu instid0(VALU_DEP_2) | instskip(NEXT) | instid1(VALU_DEP_1)
	v_sub_f32_e32 v1, v42, v1
	v_add_f32_e32 v1, v44, v1
	s_delay_alu instid0(VALU_DEP_1) | instskip(NEXT) | instid1(VALU_DEP_1)
	v_add_f32_e32 v1, v1, v45
	v_add_f32_e32 v1, v48, v1
	s_delay_alu instid0(VALU_DEP_1) | instskip(SKIP_1) | instid1(VALU_DEP_1)
	v_cndmask_b32_e64 v1, 0x7f800000, v1, s2
	v_cmp_gt_f32_e64 s2, 0x33800000, v55
	v_cndmask_b32_e64 v1, v1, v55, s2
.LBB9_4:
	s_or_b32 exec_lo, exec_lo, s3
	s_mul_i32 s2, s23, s34
	s_mov_b32 s3, 0
	v_add_nc_u64_e32 v[44:45], s[4:5], v[36:37]
	s_add_nc_u64 s[2:3], s[6:7], s[2:3]
	v_dual_mov_b32 v37, 0 :: v_dual_mul_f32 v43, v1, v14
	s_add_nc_u64 s[14:15], s[2:3], s[12:13]
	v_dual_mul_f32 v55, v1, v15 :: v_dual_mul_f32 v81, v1, v16
	global_load_b32 v42, v0, s[14:15] scale_offset
	v_dual_mul_f32 v83, v1, v17 :: v_dual_mul_f32 v84, v1, v10
	v_dual_mul_f32 v85, v1, v11 :: v_dual_mul_f32 v86, v1, v12
	;; [unrolled: 1-line block ×4, first 2 shown]
	s_delay_alu instid0(VALU_DEP_3) | instskip(SKIP_4) | instid1(VALU_DEP_4)
	v_dual_mul_f32 v82, 0x3fb8aa3b, v55 :: v_dual_mul_f32 v99, 0x3fb8aa3b, v85
	v_dual_mul_f32 v89, v1, v7 :: v_dual_mul_f32 v90, v1, v8
	;; [unrolled: 1-line block ×6, first 2 shown]
	v_rndne_f32_e32 v111, v80
	v_fma_f32 v112, 0x3fb8aa3b, v55, -v82
	v_rndne_f32_e32 v113, v82
	v_dual_mul_f32 v93, v1, v3 :: v_dual_mul_f32 v94, v1, v4
	v_dual_mul_f32 v102, 0x3fb8aa3b, v88 :: v_dual_mul_f32 v105, 0x3fb8aa3b, v91
	v_fma_f32 v110, 0x3fb8aa3b, v43, -v80
	v_fma_f32 v116, 0x3fb8aa3b, v83, -v97
	v_rndne_f32_e32 v117, v97
	v_rndne_f32_e32 v123, v100
	;; [unrolled: 1-line block ×3, first 2 shown]
	v_dual_sub_f32 v80, v80, v111 :: v_dual_sub_f32 v82, v82, v113
	v_fmac_f32_e32 v112, 0x32a5705f, v55
	v_dual_mul_f32 v106, 0x3fb8aa3b, v92 :: v_dual_mul_f32 v109, 0x3fb8aa3b, v95
	v_dual_mul_f32 v108, 0x3fb8aa3b, v94 :: v_dual_sub_f32 v97, v97, v117
	v_fma_f32 v114, 0x3fb8aa3b, v81, -v96
	v_rndne_f32_e32 v121, v99
	v_fma_f32 v122, 0x3fb8aa3b, v86, -v100
	v_fma_f32 v124, 0x3fb8aa3b, v87, -v101
	v_rndne_f32_e32 v127, v102
	v_rndne_f32_e32 v133, v105
	v_fmac_f32_e32 v110, 0x32a5705f, v43
	v_dual_fmac_f32 v116, 0x32a5705f, v83 :: v_dual_sub_f32 v101, v101, v125
	v_dual_sub_f32 v100, v100, v123 :: v_dual_add_f32 v82, v82, v112
	v_rndne_f32_e32 v119, v98
	v_fma_f32 v132, 0x3fb8aa3b, v91, -v105
	v_fma_f32 v140, 0x3fb8aa3b, v95, -v109
	v_rndne_f32_e32 v141, v109
	v_rndne_f32_e32 v115, v96
	v_fma_f32 v120, 0x3fb8aa3b, v85, -v99
	v_fma_f32 v126, 0x3fb8aa3b, v88, -v102
	v_dual_sub_f32 v99, v99, v121 :: v_dual_sub_f32 v102, v102, v127
	v_dual_add_f32 v80, v80, v110 :: v_dual_sub_f32 v105, v105, v133
	v_dual_fmac_f32 v114, 0x32a5705f, v81 :: v_dual_add_f32 v97, v97, v116
	v_exp_f32_e32 v82, v82
	v_fma_f32 v118, 0x3fb8aa3b, v84, -v98
	v_fma_f32 v128, 0x3fb8aa3b, v89, -v103
	v_rndne_f32_e32 v129, v103
	v_cvt_i32_f32_e32 v113, v113
	v_dual_sub_f32 v98, v98, v119 :: v_dual_sub_f32 v109, v109, v141
	v_fmac_f32_e32 v140, 0x32a5705f, v95
	v_fmac_f32_e32 v132, 0x32a5705f, v91
	v_dual_mul_f32 v104, 0x3fb8aa3b, v90 :: v_dual_mul_f32 v107, 0x3fb8aa3b, v93
	v_rndne_f32_e32 v135, v106
	v_dual_sub_f32 v96, v96, v115 :: v_dual_sub_f32 v103, v103, v129
	v_exp_f32_e32 v80, v80
	v_exp_f32_e32 v97, v97
	s_load_b128 s[4:7], s[0:1], 0x70
	v_cvt_i32_f32_e32 v111, v111
	v_cvt_i32_f32_e32 v117, v117
	v_dual_add_f32 v109, v109, v140 :: v_dual_fmac_f32 v128, 0x32a5705f, v89
	v_dual_add_f32 v105, v105, v132 :: v_dual_fmac_f32 v124, 0x32a5705f, v87
	v_ldexp_f32 v82, v82, v113
	s_wait_xcnt 0x0
	v_cmp_ngt_f32_e64 s0, 0xc2ce8ed0, v55
	v_rndne_f32_e32 v131, v104
	v_fma_f32 v134, 0x3fb8aa3b, v92, -v106
	v_rndne_f32_e32 v137, v107
	v_fmac_f32_e32 v118, 0x32a5705f, v84
	v_dual_sub_f32 v106, v106, v135 :: v_dual_add_f32 v96, v96, v114
	v_dual_add_f32 v103, v103, v128 :: v_dual_fmac_f32 v120, 0x32a5705f, v85
	v_dual_add_f32 v101, v101, v124 :: v_dual_fmac_f32 v122, 0x32a5705f, v86
	v_ldexp_f32 v80, v80, v111
	v_ldexp_f32 v97, v97, v117
	v_cndmask_b32_e64 v82, 0, v82, s0
	v_cmp_ngt_f32_e64 s0, 0xc2ce8ed0, v43
	v_fma_f32 v130, 0x3fb8aa3b, v90, -v104
	v_fma_f32 v136, 0x3fb8aa3b, v93, -v107
	v_dual_sub_f32 v107, v107, v137 :: v_dual_sub_f32 v104, v104, v131
	v_add_f32_e32 v98, v98, v118
	v_exp_f32_e32 v96, v96
	v_cvt_i32_f32_e32 v115, v115
	v_dual_add_f32 v99, v99, v120 :: v_dual_add_f32 v100, v100, v122
	v_cndmask_b32_e64 v110, 0, v80, s0
	v_cmp_ngt_f32_e64 s0, 0xc2ce8ed0, v83
	v_exp_f32_e32 v98, v98
	v_cvt_i32_f32_e32 v119, v119
	v_ldexp_f32 v96, v96, v115
	v_exp_f32_e32 v99, v99
	v_cndmask_b32_e64 v97, 0, v97, s0
	v_cmp_ngt_f32_e64 s0, 0xc2ce8ed0, v81
	v_cvt_i32_f32_e32 v121, v121
	v_ldexp_f32 v98, v98, v119
	v_exp_f32_e32 v100, v100
	v_cvt_i32_f32_e32 v123, v123
	v_cndmask_b32_e64 v96, 0, v96, s0
	v_cmp_ngt_f32_e64 s0, 0xc2ce8ed0, v84
	v_ldexp_f32 v99, v99, v121
	ds_load_b128 v[46:49], v37
	ds_load_b128 v[50:53], v37 offset:16
	ds_load_b128 v[56:59], v37 offset:32
	;; [unrolled: 1-line block ×7, first 2 shown]
	v_cndmask_b32_e64 v98, 0, v98, s0
	v_cmp_ngt_f32_e64 s0, 0xc2ce8ed0, v85
	v_rndne_f32_e32 v139, v108
	v_fmac_f32_e32 v126, 0x32a5705f, v88
	v_exp_f32_e32 v101, v101
	v_cvt_i32_f32_e32 v125, v125
	v_ldexp_f32 v100, v100, v123
	v_cndmask_b32_e64 v99, 0, v99, s0
	v_cmp_ngt_f32_e64 s0, 0xc2ce8ed0, v86
	v_fma_f32 v138, 0x3fb8aa3b, v94, -v108
	v_dual_sub_f32 v108, v108, v139 :: v_dual_add_f32 v102, v102, v126
	v_exp_f32_e32 v103, v103
	v_cvt_i32_f32_e32 v129, v129
	v_ldexp_f32 v101, v101, v125
	v_cndmask_b32_e64 v100, 0, v100, s0
	v_cmp_ngt_f32_e64 s0, 0xc2ce8ed0, v87
	v_exp_f32_e32 v102, v102
	v_cvt_i32_f32_e32 v127, v127
	v_ldexp_f32 v103, v103, v129
	v_exp_f32_e32 v105, v105
	v_cndmask_b32_e64 v101, 0, v101, s0
	v_cmp_ngt_f32_e64 s0, 0xc2ce8ed0, v89
	v_cvt_i32_f32_e32 v133, v133
	v_ldexp_f32 v102, v102, v127
	v_cvt_i32_f32_e32 v131, v131
	v_cvt_i32_f32_e32 v135, v135
	v_cndmask_b32_e64 v103, 0, v103, s0
	v_cmp_ngt_f32_e64 s0, 0xc2ce8ed0, v88
	v_ldexp_f32 v105, v105, v133
	v_cvt_i32_f32_e32 v137, v137
	v_exp_f32_e32 v109, v109
	v_cvt_i32_f32_e32 v141, v141
	v_cndmask_b32_e64 v102, 0, v102, s0
	v_cmp_nlt_f32_e64 s0, 0x42b17218, v43
	v_cvt_i32_f32_e32 v139, v139
	s_ashr_i32 s8, s27, 2
	s_ashr_i32 s2, s29, 2
	v_ldexp_f32 v109, v109, v141
	s_ashr_i32 s9, s8, 31
	s_ashr_i32 s3, s2, 31
	s_wait_loadcnt 0x0
	v_mul_f32_e32 v80, v1, v42
	v_cndmask_b32_e64 v42, 0x7f800000, v110, s0
	v_cmp_nlt_f32_e64 s0, 0x42b17218, v55
	s_wait_dscnt 0x7
	s_delay_alu instid0(VALU_DEP_3) | instskip(NEXT) | instid1(VALU_DEP_2)
	v_pk_mul_f32 v[46:47], v[80:81], v[46:47] op_sel_hi:[0,1]
	v_cndmask_b32_e64 v43, 0x7f800000, v82, s0
	v_cmp_ngt_f32_e64 s0, 0xc2ce8ed0, v91
	s_delay_alu instid0(VALU_DEP_2) | instskip(NEXT) | instid1(VALU_DEP_2)
	v_pk_fma_f32 v[42:43], v[30:31], v[42:43], v[46:47]
	v_cndmask_b32_e64 v1, 0, v105, s0
	v_cmp_nlt_f32_e64 s0, 0x42b17218, v81
	v_pk_mul_f32 v[46:47], v[80:81], v[48:49] op_sel_hi:[0,1]
	s_wait_dscnt 0x6
	v_pk_mul_f32 v[48:49], v[80:81], v[50:51] op_sel_hi:[0,1]
	s_wait_dscnt 0x3
	v_fma_f32 v55, v64, v42, 0
	v_cndmask_b32_e64 v82, 0x7f800000, v96, s0
	v_cmp_nlt_f32_e64 s0, 0x42b17218, v83
	s_delay_alu instid0(VALU_DEP_3) | instskip(NEXT) | instid1(VALU_DEP_2)
	v_fmac_f32_e32 v55, v65, v43
	v_cndmask_b32_e64 v83, 0x7f800000, v97, s0
	v_cmp_nlt_f32_e64 s0, 0x42b17218, v84
	s_delay_alu instid0(VALU_DEP_2) | instskip(NEXT) | instid1(VALU_DEP_2)
	v_pk_fma_f32 v[32:33], v[32:33], v[82:83], v[46:47]
	v_cndmask_b32_e64 v30, 0x7f800000, v98, s0
	v_cmp_nlt_f32_e64 s0, 0x42b17218, v85
	s_delay_alu instid0(VALU_DEP_3) | instskip(SKIP_1) | instid1(VALU_DEP_3)
	v_dual_fmac_f32 v136, 0x32a5705f, v93 :: v_dual_fmac_f32 v55, v66, v32
	v_fmac_f32_e32 v130, 0x32a5705f, v90
	v_cndmask_b32_e64 v31, 0x7f800000, v99, s0
	v_fmac_f32_e32 v134, 0x32a5705f, v92
	s_delay_alu instid0(VALU_DEP_4)
	v_add_f32_e32 v107, v107, v136
	v_fmac_f32_e32 v55, v67, v33
	v_cmp_ngt_f32_e64 s0, 0xc2ce8ed0, v90
	v_pk_fma_f32 v[30:31], v[26:27], v[30:31], v[48:49]
	v_pk_mul_f32 v[26:27], v[80:81], v[52:53] op_sel_hi:[0,1]
	v_exp_f32_e32 v107, v107
	s_wait_dscnt 0x2
	s_delay_alu instid0(VALU_DEP_2) | instskip(SKIP_1) | instid1(TRANS32_DEP_1)
	v_pk_mul_f32 v[48:49], v[68:69], v[30:31]
	v_add_f32_e32 v104, v104, v130
	v_ldexp_f32 v107, v107, v137
	s_delay_alu instid0(VALU_DEP_3) | instskip(NEXT) | instid1(VALU_DEP_3)
	v_add_f32_e32 v48, v55, v48
	v_exp_f32_e32 v104, v104
	s_delay_alu instid0(VALU_DEP_1) | instskip(NEXT) | instid1(TRANS32_DEP_1)
	v_dual_fmac_f32 v138, 0x32a5705f, v94 :: v_dual_add_f32 v49, v48, v49
	v_ldexp_f32 v104, v104, v131
	s_delay_alu instid0(VALU_DEP_1) | instskip(SKIP_1) | instid1(VALU_DEP_2)
	v_dual_add_f32 v106, v106, v134 :: v_dual_cndmask_b32 v64, 0, v104, s0
	v_cmp_nlt_f32_e64 s0, 0x42b17218, v86
	v_exp_f32_e32 v106, v106
	s_delay_alu instid0(VALU_DEP_1) | instskip(SKIP_1) | instid1(TRANS32_DEP_1)
	v_cndmask_b32_e64 v46, 0x7f800000, v100, s0
	v_cmp_nlt_f32_e64 s0, 0x42b17218, v87
	v_ldexp_f32 v106, v106, v135
	s_delay_alu instid0(VALU_DEP_2) | instskip(SKIP_1) | instid1(VALU_DEP_2)
	v_cndmask_b32_e64 v47, 0x7f800000, v101, s0
	v_cmp_ngt_f32_e64 s0, 0xc2ce8ed0, v92
	v_pk_fma_f32 v[26:27], v[28:29], v[46:47], v[26:27]
	s_delay_alu instid0(VALU_DEP_2) | instskip(SKIP_1) | instid1(VALU_DEP_3)
	v_cndmask_b32_e64 v52, 0, v106, s0
	v_cmp_nlt_f32_e64 s0, 0x42b17218, v88
	v_pk_mul_f32 v[46:47], v[70:71], v[26:27]
	s_delay_alu instid0(VALU_DEP_2) | instskip(SKIP_1) | instid1(VALU_DEP_3)
	v_cndmask_b32_e64 v50, 0x7f800000, v102, s0
	v_cmp_nlt_f32_e64 s0, 0x42b17218, v89
	v_add_f32_e32 v46, v49, v46
	s_delay_alu instid0(VALU_DEP_2) | instskip(SKIP_1) | instid1(VALU_DEP_1)
	v_cndmask_b32_e64 v51, 0x7f800000, v103, s0
	v_cmp_ngt_f32_e64 s0, 0xc2ce8ed0, v93
	v_dual_add_f32 v108, v108, v138 :: v_dual_cndmask_b32 v53, 0, v107, s0
	v_cmp_nlt_f32_e64 s0, 0x42b17218, v90
	s_delay_alu instid0(VALU_DEP_2) | instskip(NEXT) | instid1(VALU_DEP_1)
	v_exp_f32_e32 v108, v108
	v_cndmask_b32_e64 v48, 0x7f800000, v64, s0
	v_cmp_nlt_f32_e64 s0, 0x42b17218, v91
	s_delay_alu instid0(TRANS32_DEP_1) | instskip(NEXT) | instid1(VALU_DEP_2)
	v_ldexp_f32 v108, v108, v139
	v_cndmask_b32_e64 v49, 0x7f800000, v1, s0
	v_add_f32_e32 v1, v46, v47
	v_pk_mul_f32 v[28:29], v[80:81], v[56:57] op_sel_hi:[0,1]
	v_cmp_ngt_f32_e64 s0, 0xc2ce8ed0, v94
	s_delay_alu instid0(VALU_DEP_2) | instskip(NEXT) | instid1(VALU_DEP_2)
	v_pk_fma_f32 v[22:23], v[22:23], v[50:51], v[28:29]
	v_cndmask_b32_e64 v55, 0, v108, s0
	v_cmp_nlt_f32_e64 s0, 0x42b17218, v92
	v_pk_mul_f32 v[28:29], v[80:81], v[58:59] op_sel_hi:[0,1]
	s_wait_dscnt 0x1
	v_pk_mul_f32 v[50:51], v[72:73], v[22:23]
	s_delay_alu instid0(VALU_DEP_3) | instskip(SKIP_2) | instid1(VALU_DEP_4)
	v_cndmask_b32_e64 v46, 0x7f800000, v52, s0
	v_cmp_nlt_f32_e64 s0, 0x42b17218, v93
	v_pk_fma_f32 v[24:25], v[24:25], v[48:49], v[28:29]
	v_add_f32_e32 v1, v1, v50
	v_pk_mul_f32 v[28:29], v[80:81], v[60:61] op_sel_hi:[0,1]
	s_delay_alu instid0(VALU_DEP_4) | instskip(SKIP_3) | instid1(VALU_DEP_4)
	v_cndmask_b32_e64 v47, 0x7f800000, v53, s0
	v_cmp_ngt_f32_e64 s0, 0xc2ce8ed0, v95
	v_pk_mul_f32 v[48:49], v[74:75], v[24:25]
	v_add_f32_e32 v1, v1, v51
	v_pk_fma_f32 v[18:19], v[18:19], v[46:47], v[28:29]
	s_delay_alu instid0(VALU_DEP_4) | instskip(SKIP_1) | instid1(VALU_DEP_4)
	v_cndmask_b32_e64 v51, 0, v109, s0
	v_cmp_nlt_f32_e64 s0, 0x42b17218, v94
	v_add_f32_e32 v1, v1, v48
	v_pk_mul_f32 v[28:29], v[80:81], v[62:63] op_sel_hi:[0,1]
	s_wait_dscnt 0x0
	v_pk_mul_f32 v[46:47], v[76:77], v[18:19]
	v_cndmask_b32_e64 v50, 0x7f800000, v55, s0
	v_cmp_nlt_f32_e64 s0, 0x42b17218, v95
	v_add_f32_e32 v1, v1, v49
	s_delay_alu instid0(VALU_DEP_2) | instskip(NEXT) | instid1(VALU_DEP_2)
	v_cndmask_b32_e64 v51, 0x7f800000, v51, s0
	v_add_f32_e32 v1, v1, v46
	s_wait_kmcnt 0x0
	s_mul_u64 s[0:1], s[34:35], s[6:7]
	s_delay_alu instid0(SALU_CYCLE_1) | instskip(SKIP_3) | instid1(SALU_CYCLE_1)
	s_lshl_b64 s[0:1], s[0:1], 5
	v_pk_fma_f32 v[20:21], v[20:21], v[50:51], v[28:29]
	v_add_f32_e32 v1, v1, v47
	s_add_nc_u64 s[0:1], s[18:19], s[0:1]
	s_add_nc_u64 s[0:1], s[0:1], s[12:13]
	s_delay_alu instid0(VALU_DEP_2) | instskip(NEXT) | instid1(VALU_DEP_1)
	v_pk_mul_f32 v[28:29], v[78:79], v[20:21]
	v_add_f32_e32 v1, v1, v28
	s_delay_alu instid0(VALU_DEP_1)
	v_add_f32_e32 v1, v1, v29
	global_store_b32 v0, v1, s[0:1] scale_offset
	s_wait_storecnt 0x0
	s_barrier_signal -1
	s_barrier_wait -1
	s_wait_xcnt 0x0
	s_and_saveexec_b32 s12, vcc_lo
	s_cbranch_execz .LBB9_6
; %bb.5:
	v_lshl_add_u64 v[0:1], s[8:9], 2, v[40:41]
	v_lshl_add_u64 v[28:29], s[2:3], 2, v[38:39]
	global_load_b32 v46, v[0:1], off
	global_load_b32 v47, v[28:29], off
	s_wait_loadcnt 0x1
	ds_store_b32 v36, v46
	s_wait_loadcnt 0x0
	ds_store_b32 v54, v47
.LBB9_6:
	s_or_b32 exec_lo, exec_lo, s12
	s_ashr_i32 s12, s24, 2
	s_wait_dscnt 0x0
	s_ashr_i32 s13, s12, 31
	s_barrier_signal -1
	v_lshl_add_u64 v[28:29], s[12:13], 2, v[44:45]
	s_barrier_wait -1
	v_add_nc_u64_e32 v[44:45], s[14:15], v[36:37]
	v_add_nc_u64_e32 v[0:1], s[0:1], v[36:37]
	global_load_b32 v46, v[28:29], off
	s_mov_b32 s1, exec_lo
	s_wait_loadcnt 0x0
	v_cmpx_ge_f32_e32 0x41a00000, v46
	s_cbranch_execz .LBB9_8
; %bb.7:
	v_mul_f32_e32 v37, 0x3fb8aa3b, v46
	v_cmp_ngt_f32_e64 s0, 0xc2ce8ed0, v46
	s_delay_alu instid0(VALU_DEP_2) | instskip(SKIP_1) | instid1(VALU_DEP_1)
	v_rndne_f32_e32 v47, v37
	v_fma_f32 v48, 0x3fb8aa3b, v46, -v37
	v_dual_sub_f32 v37, v37, v47 :: v_dual_fmamk_f32 v48, v46, 0x32a5705f, v48
	v_cvt_i32_f32_e32 v47, v47
	s_delay_alu instid0(VALU_DEP_2) | instskip(NEXT) | instid1(VALU_DEP_1)
	v_add_f32_e32 v37, v37, v48
	v_exp_f32_e32 v37, v37
	v_nop
	s_delay_alu instid0(TRANS32_DEP_1) | instskip(NEXT) | instid1(VALU_DEP_1)
	v_ldexp_f32 v37, v37, v47
	v_cndmask_b32_e64 v37, 0, v37, s0
	v_cmp_nlt_f32_e64 s0, 0x42b17218, v46
	s_delay_alu instid0(VALU_DEP_1) | instskip(NEXT) | instid1(VALU_DEP_1)
	v_cndmask_b32_e64 v55, 0x7f800000, v37, s0
	v_add_f32_e32 v37, 1.0, v55
	s_delay_alu instid0(VALU_DEP_1) | instskip(NEXT) | instid1(VALU_DEP_1)
	v_cvt_f64_f32_e32 v[46:47], v37
	v_frexp_exp_i32_f64_e32 v46, v[46:47]
	v_frexp_mant_f32_e32 v47, v37
	s_delay_alu instid0(VALU_DEP_1) | instskip(NEXT) | instid1(VALU_DEP_1)
	v_cmp_gt_f32_e64 s0, 0x3f2aaaab, v47
	v_subrev_co_ci_u32_e64 v52, null, 0, v46, s0
	v_add_f32_e32 v46, -1.0, v37
	s_mov_b32 s0, 0x3e9b6dac
	s_delay_alu instid0(VALU_DEP_1) | instskip(NEXT) | instid1(VALU_DEP_1)
	v_dual_sub_f32 v48, v46, v37 :: v_dual_sub_nc_u32 v47, 0, v52
	v_dual_sub_f32 v46, v55, v46 :: v_dual_add_f32 v48, 1.0, v48
	s_delay_alu instid0(VALU_DEP_1) | instskip(NEXT) | instid1(VALU_DEP_3)
	v_add_f32_e32 v46, v46, v48
	v_ldexp_f32 v37, v37, v47
	s_delay_alu instid0(VALU_DEP_2) | instskip(NEXT) | instid1(VALU_DEP_2)
	v_ldexp_f32 v46, v46, v47
	v_dual_add_f32 v49, 1.0, v37 :: v_dual_add_f32 v51, -1.0, v37
	s_delay_alu instid0(VALU_DEP_1) | instskip(NEXT) | instid1(VALU_DEP_1)
	v_add_f32_e32 v48, -1.0, v49
	v_dual_sub_f32 v47, v37, v48 :: v_dual_add_f32 v48, 1.0, v51
	s_delay_alu instid0(VALU_DEP_1) | instskip(NEXT) | instid1(VALU_DEP_1)
	v_dual_add_f32 v50, v46, v47 :: v_dual_sub_f32 v37, v37, v48
	v_dual_add_f32 v53, v49, v50 :: v_dual_add_f32 v37, v46, v37
	s_delay_alu instid0(VALU_DEP_1) | instskip(SKIP_1) | instid1(VALU_DEP_1)
	v_sub_f32_e32 v46, v49, v53
	v_rcp_f32_e32 v56, v53
	v_dual_add_f32 v58, v50, v46 :: v_dual_add_f32 v47, v51, v37
	s_delay_alu instid0(TRANS32_DEP_1) | instid1(VALU_DEP_1)
	v_mul_f32_e32 v57, v47, v56
	s_delay_alu instid0(VALU_DEP_1) | instskip(NEXT) | instid1(VALU_DEP_1)
	v_mul_f32_e32 v48, v53, v57
	v_fma_f32 v50, v57, v53, -v48
	s_delay_alu instid0(VALU_DEP_1) | instskip(NEXT) | instid1(VALU_DEP_1)
	v_dual_fmac_f32 v50, v57, v58 :: v_dual_sub_f32 v59, v51, v47
	v_dual_add_f32 v46, v48, v50 :: v_dual_add_f32 v37, v37, v59
	s_delay_alu instid0(VALU_DEP_1) | instskip(NEXT) | instid1(VALU_DEP_1)
	v_dual_sub_f32 v49, v47, v46 :: v_dual_mov_b32 v51, v46
	v_pk_add_f32 v[46:47], v[46:47], v[48:49] neg_lo:[0,1] neg_hi:[0,1]
	s_delay_alu instid0(VALU_DEP_1) | instskip(NEXT) | instid1(VALU_DEP_1)
	v_pk_add_f32 v[46:47], v[46:47], v[50:51] neg_lo:[0,1] neg_hi:[0,1]
	v_add_f32_e32 v37, v37, v47
	s_delay_alu instid0(VALU_DEP_1) | instskip(NEXT) | instid1(VALU_DEP_1)
	v_add_f32_e32 v37, v46, v37
	v_add_f32_e32 v47, v49, v37
	s_delay_alu instid0(VALU_DEP_1) | instskip(NEXT) | instid1(VALU_DEP_1)
	v_mul_f32_e32 v59, v56, v47
	v_mul_f32_e32 v50, v53, v59
	s_delay_alu instid0(VALU_DEP_1) | instskip(NEXT) | instid1(VALU_DEP_1)
	v_fma_f32 v48, v59, v53, -v50
	v_dual_fmac_f32 v48, v59, v58 :: v_dual_sub_f32 v53, v49, v47
	s_delay_alu instid0(VALU_DEP_1) | instskip(NEXT) | instid1(VALU_DEP_1)
	v_dual_add_f32 v46, v50, v48 :: v_dual_add_f32 v37, v37, v53
	v_dual_sub_f32 v51, v47, v46 :: v_dual_mov_b32 v49, v46
	s_delay_alu instid0(VALU_DEP_1) | instskip(NEXT) | instid1(VALU_DEP_1)
	v_pk_add_f32 v[46:47], v[46:47], v[50:51] neg_lo:[0,1] neg_hi:[0,1]
	v_pk_add_f32 v[46:47], v[46:47], v[48:49] neg_lo:[0,1] neg_hi:[0,1]
	v_add_f32_e32 v50, v57, v59
	v_cvt_f32_i32_e32 v48, v52
	s_delay_alu instid0(VALU_DEP_3) | instskip(NEXT) | instid1(VALU_DEP_1)
	v_add_f32_e32 v37, v37, v47
	v_add_f32_e32 v37, v46, v37
	s_delay_alu instid0(VALU_DEP_4) | instskip(NEXT) | instid1(VALU_DEP_2)
	v_sub_f32_e32 v46, v50, v57
	v_add_f32_e32 v37, v51, v37
	s_delay_alu instid0(VALU_DEP_1) | instskip(NEXT) | instid1(VALU_DEP_1)
	v_dual_sub_f32 v46, v59, v46 :: v_dual_mul_f32 v37, v56, v37
	v_dual_add_f32 v37, v46, v37 :: v_dual_mov_b32 v46, 0x3f317218
	s_delay_alu instid0(VALU_DEP_1) | instskip(NEXT) | instid1(VALU_DEP_1)
	v_add_f32_e32 v51, v50, v37
	v_mul_f32_e32 v47, v51, v51
	s_delay_alu instid0(VALU_DEP_1) | instskip(SKIP_2) | instid1(VALU_DEP_3)
	v_fmaak_f32 v53, s0, v47, 0x3ecc95a3
	v_mul_f32_e32 v49, v51, v47
	v_cmp_neq_f32_e64 s0, 0x7f800000, v55
	v_fmaak_f32 v47, v47, v53, 0x3f2aaada
	s_delay_alu instid0(VALU_DEP_1) | instskip(NEXT) | instid1(VALU_DEP_1)
	v_pk_mul_f32 v[46:47], v[48:49], v[46:47]
	v_fma_f32 v52, 0x3f317218, v48, -v46
	s_delay_alu instid0(VALU_DEP_1) | instskip(SKIP_2) | instid1(VALU_DEP_2)
	v_fmamk_f32 v48, v48, 0xb102e308, v52
	v_ldexp_f32 v49, v51, 1
	v_sub_f32_e32 v52, v51, v50
	v_pk_add_f32 v[50:51], v[46:47], v[48:49]
	s_delay_alu instid0(VALU_DEP_2) | instskip(NEXT) | instid1(VALU_DEP_2)
	v_dual_sub_f32 v37, v37, v52 :: v_dual_mov_b32 v52, v46
	v_sub_f32_e32 v49, v51, v49
	s_delay_alu instid0(VALU_DEP_2) | instskip(SKIP_1) | instid1(VALU_DEP_3)
	v_ldexp_f32 v37, v37, 1
	v_mov_b32_e32 v62, v51
	v_sub_f32_e32 v49, v47, v49
	v_pk_add_f32 v[46:47], v[50:51], v[46:47] neg_lo:[0,1] neg_hi:[0,1]
	s_delay_alu instid0(VALU_DEP_2) | instskip(NEXT) | instid1(VALU_DEP_1)
	v_dual_add_f32 v53, v37, v49 :: v_dual_mov_b32 v49, v50
	v_pk_add_f32 v[56:57], v[50:51], v[52:53]
	s_delay_alu instid0(VALU_DEP_1) | instskip(NEXT) | instid1(VALU_DEP_1)
	v_mov_b32_e32 v47, v57
	v_pk_add_f32 v[58:59], v[48:49], v[46:47]
	v_pk_add_f32 v[46:47], v[48:49], v[46:47] neg_lo:[0,1] neg_hi:[0,1]
	s_delay_alu instid0(VALU_DEP_2) | instskip(NEXT) | instid1(VALU_DEP_1)
	v_dual_mov_b32 v52, v59 :: v_dual_mov_b32 v47, v59
	v_pk_add_f32 v[60:61], v[52:53], v[50:51] neg_lo:[0,1] neg_hi:[0,1]
	v_dual_mov_b32 v58, v57 :: v_dual_mov_b32 v51, v50
	s_delay_alu instid0(VALU_DEP_2) | instskip(SKIP_1) | instid1(VALU_DEP_2)
	v_dual_mov_b32 v50, v53 :: v_dual_mov_b32 v63, v60
	v_mov_b32_e32 v37, v60
	v_pk_add_f32 v[60:61], v[58:59], v[62:63] neg_lo:[0,1] neg_hi:[0,1]
	s_delay_alu instid0(VALU_DEP_2) | instskip(SKIP_1) | instid1(VALU_DEP_3)
	v_pk_add_f32 v[48:49], v[56:57], v[36:37] neg_lo:[0,1] neg_hi:[0,1]
	v_mov_b32_e32 v48, v46
	v_pk_add_f32 v[50:51], v[50:51], v[60:61] neg_lo:[0,1] neg_hi:[0,1]
	s_delay_alu instid0(VALU_DEP_1) | instskip(NEXT) | instid1(VALU_DEP_1)
	v_pk_add_f32 v[48:49], v[48:49], v[50:51]
	v_mov_b32_e32 v56, v49
	s_delay_alu instid0(VALU_DEP_1) | instskip(NEXT) | instid1(VALU_DEP_1)
	v_pk_add_f32 v[56:57], v[48:49], v[56:57]
	v_pk_add_f32 v[52:53], v[52:53], v[56:57]
	s_delay_alu instid0(VALU_DEP_1) | instskip(NEXT) | instid1(VALU_DEP_1)
	v_dual_mov_b32 v51, v56 :: v_dual_mov_b32 v49, v52
	v_pk_add_f32 v[58:59], v[48:49], v[46:47] neg_lo:[0,1] neg_hi:[0,1]
	s_delay_alu instid0(VALU_DEP_1) | instskip(NEXT) | instid1(VALU_DEP_2)
	v_sub_f32_e32 v37, v48, v58
	v_pk_add_f32 v[48:49], v[50:51], v[58:59] neg_lo:[0,1] neg_hi:[0,1]
	s_delay_alu instid0(VALU_DEP_2) | instskip(NEXT) | instid1(VALU_DEP_1)
	v_sub_f32_e32 v37, v46, v37
	v_add_f32_e32 v37, v48, v37
	s_delay_alu instid0(VALU_DEP_1) | instskip(NEXT) | instid1(VALU_DEP_1)
	v_add_f32_e32 v37, v37, v49
	v_add_f32_e32 v37, v52, v37
	s_delay_alu instid0(VALU_DEP_1) | instskip(SKIP_1) | instid1(VALU_DEP_1)
	v_cndmask_b32_e64 v37, 0x7f800000, v37, s0
	v_cmp_gt_f32_e64 s0, 0x33800000, v55
	v_cndmask_b32_e64 v46, v37, v55, s0
.LBB9_8:
	s_or_b32 exec_lo, exec_lo, s1
	s_ashr_i32 s22, s22, 2
	s_delay_alu instid0(VALU_DEP_1)
	v_dual_mul_f32 v47, v46, v14 :: v_dual_mov_b32 v52, 0
	s_ashr_i32 s23, s22, 31
	v_dual_mul_f32 v53, v46, v15 :: v_dual_mul_f32 v55, v46, v16
	v_lshl_add_u64 v[44:45], s[22:23], 2, v[44:45]
	v_dual_mul_f32 v87, v46, v11 :: v_dual_mul_f32 v88, v46, v12
	v_dual_mul_f32 v91, v46, v7 :: v_dual_mul_f32 v92, v46, v8
	global_load_b32 v37, v[44:45], off
	v_dual_mul_f32 v93, v46, v9 :: v_dual_mul_f32 v94, v46, v2
	v_dual_mul_f32 v85, v46, v17 :: v_dual_mul_f32 v86, v46, v10
	v_dual_mul_f32 v89, v46, v13 :: v_dual_mul_f32 v90, v46, v6
	v_dual_mul_f32 v97, v46, v5 :: v_dual_mul_f32 v84, 0x3fb8aa3b, v47
	v_dual_mul_f32 v98, 0x3fb8aa3b, v53 :: v_dual_mul_f32 v99, 0x3fb8aa3b, v55
	v_dual_mul_f32 v102, 0x3fb8aa3b, v87 :: v_dual_mul_f32 v103, 0x3fb8aa3b, v88
	v_dual_mul_f32 v106, 0x3fb8aa3b, v91 :: v_dual_mul_f32 v107, 0x3fb8aa3b, v92
	v_dual_mul_f32 v108, 0x3fb8aa3b, v93 :: v_dual_mul_f32 v109, 0x3fb8aa3b, v94
	ds_load_b128 v[48:51], v52
	ds_load_b128 v[56:59], v52 offset:16
	v_dual_mul_f32 v100, 0x3fb8aa3b, v85 :: v_dual_mul_f32 v101, 0x3fb8aa3b, v86
	v_dual_mul_f32 v104, 0x3fb8aa3b, v89 :: v_dual_mul_f32 v105, 0x3fb8aa3b, v90
	ds_load_b128 v[60:63], v52 offset:64
	ds_load_b128 v[64:67], v52 offset:80
	;; [unrolled: 1-line block ×6, first 2 shown]
	v_fma_f32 v52, 0x3fb8aa3b, v47, -v84
	v_rndne_f32_e32 v113, v84
	v_fma_f32 v114, 0x3fb8aa3b, v53, -v98
	v_rndne_f32_e32 v115, v98
	;; [unrolled: 2-line block ×4, first 2 shown]
	v_rndne_f32_e32 v133, v107
	v_rndne_f32_e32 v137, v109
	v_dual_mul_f32 v95, v46, v3 :: v_dual_mul_f32 v96, v46, v4
	v_fma_f32 v118, 0x3fb8aa3b, v85, -v100
	v_rndne_f32_e32 v119, v100
	v_rndne_f32_e32 v121, v101
	;; [unrolled: 1-line block ×3, first 2 shown]
	v_fma_f32 v126, 0x3fb8aa3b, v89, -v104
	v_rndne_f32_e32 v127, v104
	v_fma_f32 v130, 0x3fb8aa3b, v91, -v106
	v_rndne_f32_e32 v131, v106
	v_fma_f32 v132, 0x3fb8aa3b, v92, -v107
	v_fma_f32 v134, 0x3fb8aa3b, v93, -v108
	v_rndne_f32_e32 v135, v108
	v_fma_f32 v136, 0x3fb8aa3b, v94, -v109
	v_dual_fmac_f32 v52, 0x32a5705f, v47 :: v_dual_sub_f32 v99, v99, v117
	v_dual_sub_f32 v84, v84, v113 :: v_dual_sub_f32 v98, v98, v115
	v_fmac_f32_e32 v116, 0x32a5705f, v55
	v_dual_fmac_f32 v122, 0x32a5705f, v87 :: v_dual_sub_f32 v107, v107, v133
	v_dual_sub_f32 v102, v102, v123 :: v_dual_sub_f32 v109, v109, v137
	v_fmac_f32_e32 v114, 0x32a5705f, v53
	v_dual_mul_f32 v110, 0x3fb8aa3b, v95 :: v_dual_mul_f32 v111, 0x3fb8aa3b, v96
	v_fma_f32 v120, 0x3fb8aa3b, v86, -v101
	v_fma_f32 v124, 0x3fb8aa3b, v88, -v103
	v_dual_sub_f32 v100, v100, v119 :: v_dual_sub_f32 v103, v103, v125
	v_dual_sub_f32 v101, v101, v121 :: v_dual_sub_f32 v104, v104, v127
	v_dual_sub_f32 v106, v106, v131 :: v_dual_add_f32 v52, v84, v52
	v_fmac_f32_e32 v134, 0x32a5705f, v93
	v_dual_sub_f32 v108, v108, v135 :: v_dual_add_f32 v84, v98, v114
	v_add_f32_e32 v98, v99, v116
	v_fmac_f32_e32 v130, 0x32a5705f, v91
	v_fmac_f32_e32 v126, 0x32a5705f, v89
	;; [unrolled: 1-line block ×3, first 2 shown]
	v_mul_f32_e32 v112, 0x3fb8aa3b, v97
	v_rndne_f32_e32 v129, v105
	v_rndne_f32_e32 v139, v110
	;; [unrolled: 1-line block ×3, first 2 shown]
	v_fmac_f32_e32 v120, 0x32a5705f, v86
	v_dual_fmac_f32 v124, 0x32a5705f, v88 :: v_dual_add_f32 v99, v100, v118
	v_rndne_f32_e32 v143, v112
	v_fma_f32 v128, 0x3fb8aa3b, v90, -v105
	v_fma_f32 v138, 0x3fb8aa3b, v95, -v110
	v_fma_f32 v140, 0x3fb8aa3b, v96, -v111
	v_fma_f32 v142, 0x3fb8aa3b, v97, -v112
	v_dual_sub_f32 v105, v105, v129 :: v_dual_sub_f32 v110, v110, v139
	v_dual_add_f32 v100, v101, v120 :: v_dual_sub_f32 v111, v111, v141
	v_dual_sub_f32 v112, v112, v143 :: v_dual_add_f32 v101, v102, v122
	v_dual_add_f32 v102, v103, v124 :: v_dual_add_f32 v103, v104, v126
	v_exp_f32_e32 v84, v84
	v_cvt_i32_f32_e32 v115, v115
	v_exp_f32_e32 v99, v99
	v_cvt_i32_f32_e32 v119, v119
	v_exp_f32_e32 v103, v103
	v_cvt_i32_f32_e32 v127, v127
	v_cmp_ngt_f32_e64 s0, 0xc2ce8ed0, v53
	v_ldexp_f32 v84, v84, v115
	v_exp_f32_e32 v101, v101
	v_fmac_f32_e32 v128, 0x32a5705f, v90
	v_cvt_i32_f32_e32 v123, v123
	v_ldexp_f32 v99, v99, v119
	v_ldexp_f32 v103, v103, v127
	v_cndmask_b32_e64 v84, 0, v84, s0
	v_cmp_ngt_f32_e64 s0, 0xc2ce8ed0, v85
	v_fmac_f32_e32 v138, 0x32a5705f, v95
	v_fmac_f32_e32 v132, 0x32a5705f, v92
	v_add_f32_e32 v104, v105, v128
	v_ldexp_f32 v101, v101, v123
	v_cndmask_b32_e64 v99, 0, v99, s0
	v_cmp_ngt_f32_e64 s0, 0xc2ce8ed0, v87
	v_exp_f32_e32 v52, v52
	v_cvt_i32_f32_e32 v113, v113
	v_dual_add_f32 v105, v106, v130 :: v_dual_add_f32 v106, v107, v132
	s_delay_alu instid0(VALU_DEP_3)
	v_cndmask_b32_e64 v101, 0, v101, s0
	v_cmp_ngt_f32_e64 s0, 0xc2ce8ed0, v89
	v_exp_f32_e32 v98, v98
	v_cvt_i32_f32_e32 v117, v117
	v_ldexp_f32 v52, v52, v113
	v_exp_f32_e32 v100, v100
	v_cndmask_b32_e64 v103, 0, v103, s0
	v_cmp_ngt_f32_e64 s0, 0xc2ce8ed0, v47
	v_cvt_i32_f32_e32 v121, v121
	v_ldexp_f32 v98, v98, v117
	v_exp_f32_e32 v102, v102
	v_cvt_i32_f32_e32 v125, v125
	v_cndmask_b32_e64 v52, 0, v52, s0
	v_cmp_ngt_f32_e64 s0, 0xc2ce8ed0, v55
	v_ldexp_f32 v100, v100, v121
	v_exp_f32_e32 v104, v104
	v_cvt_i32_f32_e32 v129, v129
	v_ldexp_f32 v102, v102, v125
	v_cndmask_b32_e64 v98, 0, v98, s0
	v_cmp_ngt_f32_e64 s0, 0xc2ce8ed0, v86
	v_exp_f32_e32 v105, v105
	v_cvt_i32_f32_e32 v131, v131
	v_ldexp_f32 v104, v104, v129
	v_exp_f32_e32 v106, v106
	v_cndmask_b32_e64 v100, 0, v100, s0
	v_cmp_ngt_f32_e64 s0, 0xc2ce8ed0, v88
	v_cvt_i32_f32_e32 v133, v133
	v_ldexp_f32 v105, v105, v131
	v_add_f32_e32 v107, v108, v134
	v_cvt_i32_f32_e32 v135, v135
	v_cndmask_b32_e64 v102, 0, v102, s0
	v_cmp_ngt_f32_e64 s0, 0xc2ce8ed0, v90
	v_ldexp_f32 v106, v106, v133
	v_exp_f32_e32 v107, v107
	v_cvt_i32_f32_e32 v137, v137
	v_cvt_i32_f32_e32 v139, v139
	v_cndmask_b32_e64 v104, 0, v104, s0
	v_cmp_ngt_f32_e64 s0, 0xc2ce8ed0, v91
	v_cvt_i32_f32_e32 v141, v141
	v_cvt_i32_f32_e32 v143, v143
	v_ldexp_f32 v107, v107, v135
	s_mov_b32 s16, 0
	v_cndmask_b32_e64 v105, 0, v105, s0
	v_cmp_nlt_f32_e64 s0, 0x42b17218, v47
	s_mov_b32 s17, s6
	v_cndmask_b32_e64 v52, 0x7f800000, v52, s0
	v_cmp_nlt_f32_e64 s0, 0x42b17218, v53
	s_delay_alu instid0(VALU_DEP_1) | instskip(SKIP_2) | instid1(VALU_DEP_1)
	v_cndmask_b32_e64 v53, 0x7f800000, v84, s0
	v_cmp_ngt_f32_e64 s0, 0xc2ce8ed0, v92
	s_wait_loadcnt 0x0
	v_dual_mul_f32 v46, v46, v37 :: v_dual_cndmask_b32 v37, 0, v106, s0
	v_cmp_nlt_f32_e64 s0, 0x42b17218, v55
	s_wait_dscnt 0x7
	s_delay_alu instid0(VALU_DEP_2) | instskip(SKIP_1) | instid1(VALU_DEP_3)
	v_pk_mul_f32 v[48:49], v[46:47], v[48:49] op_sel_hi:[0,1]
	v_pk_mul_f32 v[50:51], v[46:47], v[50:51] op_sel_hi:[0,1]
	v_cndmask_b32_e64 v84, 0x7f800000, v98, s0
	v_cmp_nlt_f32_e64 s0, 0x42b17218, v85
	s_delay_alu instid0(VALU_DEP_4) | instskip(NEXT) | instid1(VALU_DEP_2)
	v_pk_fma_f32 v[42:43], v[42:43], v[52:53], v[48:49]
	v_cndmask_b32_e64 v85, 0x7f800000, v99, s0
	v_cmp_nlt_f32_e64 s0, 0x42b17218, v86
	s_wait_dscnt 0x5
	s_delay_alu instid0(VALU_DEP_3) | instskip(NEXT) | instid1(VALU_DEP_3)
	v_fma_f32 v47, v60, v42, 0
	v_pk_fma_f32 v[32:33], v[32:33], v[84:85], v[50:51]
	s_delay_alu instid0(VALU_DEP_3) | instskip(SKIP_1) | instid1(VALU_DEP_4)
	v_cndmask_b32_e64 v48, 0x7f800000, v100, s0
	v_cmp_nlt_f32_e64 s0, 0x42b17218, v87
	v_pk_mul_f32 v[52:53], v[46:47], v[56:57] op_sel_hi:[0,1]
	v_dual_fmac_f32 v47, v61, v43 :: v_dual_fmac_f32 v136, 0x32a5705f, v94
	s_delay_alu instid0(VALU_DEP_3) | instskip(SKIP_1) | instid1(VALU_DEP_3)
	v_cndmask_b32_e64 v49, 0x7f800000, v101, s0
	v_cmp_ngt_f32_e64 s0, 0xc2ce8ed0, v93
	v_fmac_f32_e32 v47, v62, v32
	s_delay_alu instid0(VALU_DEP_4) | instskip(NEXT) | instid1(VALU_DEP_4)
	v_add_f32_e32 v108, v109, v136
	v_pk_fma_f32 v[30:31], v[30:31], v[48:49], v[52:53]
	s_delay_alu instid0(VALU_DEP_4) | instskip(SKIP_1) | instid1(VALU_DEP_4)
	v_cndmask_b32_e64 v55, 0, v107, s0
	v_cmp_nlt_f32_e64 s0, 0x42b17218, v88
	v_exp_f32_e32 v108, v108
	v_pk_mul_f32 v[48:49], v[46:47], v[58:59] op_sel_hi:[0,1]
	s_wait_dscnt 0x4
	v_pk_mul_f32 v[52:53], v[64:65], v[30:31]
	v_fmac_f32_e32 v47, v63, v33
	v_cndmask_b32_e64 v50, 0x7f800000, v102, s0
	v_cmp_nlt_f32_e64 s0, 0x42b17218, v89
	v_fmac_f32_e32 v142, 0x32a5705f, v97
	v_ldexp_f32 v108, v108, v137
	v_dual_add_f32 v47, v47, v52 :: v_dual_add_f32 v109, v110, v138
	s_delay_alu instid0(VALU_DEP_4) | instskip(SKIP_2) | instid1(VALU_DEP_4)
	v_cndmask_b32_e64 v51, 0x7f800000, v103, s0
	v_cmp_ngt_f32_e64 s0, 0xc2ce8ed0, v94
	v_fmac_f32_e32 v140, 0x32a5705f, v96
	v_exp_f32_e32 v109, v109
	s_delay_alu instid0(VALU_DEP_3) | instskip(SKIP_3) | instid1(VALU_DEP_3)
	v_pk_fma_f32 v[26:27], v[26:27], v[50:51], v[48:49]
	s_wait_dscnt 0x3
	v_pk_mul_f32 v[48:49], v[46:47], v[68:69] op_sel_hi:[0,1]
	v_add_f32_e32 v47, v47, v53
	v_pk_mul_f32 v[50:51], v[66:67], v[26:27]
	v_cndmask_b32_e64 v58, 0, v108, s0
	v_cmp_nlt_f32_e64 s0, 0x42b17218, v90
	v_ldexp_f32 v109, v109, v139
	s_delay_alu instid0(VALU_DEP_2) | instskip(SKIP_1) | instid1(VALU_DEP_1)
	v_cndmask_b32_e64 v56, 0x7f800000, v104, s0
	v_cmp_nlt_f32_e64 s0, 0x42b17218, v91
	v_cndmask_b32_e64 v57, 0x7f800000, v105, s0
	v_cmp_ngt_f32_e64 s0, 0xc2ce8ed0, v95
	v_dual_add_f32 v110, v111, v140 :: v_dual_add_f32 v111, v112, v142
	s_delay_alu instid0(VALU_DEP_3) | instskip(NEXT) | instid1(VALU_DEP_3)
	v_pk_fma_f32 v[22:23], v[22:23], v[56:57], v[48:49]
	v_cndmask_b32_e64 v59, 0, v109, s0
	v_cmp_nlt_f32_e64 s0, 0x42b17218, v92
	s_delay_alu instid0(VALU_DEP_4)
	v_exp_f32_e32 v110, v110
	v_pk_mul_f32 v[48:49], v[46:47], v[70:71] op_sel_hi:[0,1]
	v_exp_f32_e32 v111, v111
	s_wait_dscnt 0x1
	v_pk_mul_f32 v[56:57], v[76:77], v[22:23]
	v_cndmask_b32_e64 v52, 0x7f800000, v37, s0
	v_cmp_nlt_f32_e64 s0, 0x42b17218, v93
	v_add_f32_e32 v37, v47, v50
	v_ldexp_f32 v110, v110, v141
	v_ldexp_f32 v111, v111, v143
	s_delay_alu instid0(VALU_DEP_4) | instskip(SKIP_2) | instid1(VALU_DEP_3)
	v_cndmask_b32_e64 v53, 0x7f800000, v55, s0
	v_cmp_ngt_f32_e64 s0, 0xc2ce8ed0, v96
	v_add_f32_e32 v37, v37, v51
	v_pk_fma_f32 v[24:25], v[24:25], v[52:53], v[48:49]
	s_delay_alu instid0(VALU_DEP_3) | instskip(SKIP_1) | instid1(VALU_DEP_3)
	v_cndmask_b32_e64 v47, 0, v110, s0
	v_cmp_nlt_f32_e64 s0, 0x42b17218, v94
	v_pk_mul_f32 v[52:53], v[78:79], v[24:25]
	s_delay_alu instid0(VALU_DEP_3) | instskip(NEXT) | instid1(VALU_DEP_3)
	v_pk_mul_f32 v[48:49], v[46:47], v[72:73] op_sel_hi:[0,1]
	v_cndmask_b32_e64 v50, 0x7f800000, v58, s0
	v_cmp_nlt_f32_e64 s0, 0x42b17218, v95
	s_delay_alu instid0(VALU_DEP_1) | instskip(SKIP_2) | instid1(VALU_DEP_3)
	v_cndmask_b32_e64 v51, 0x7f800000, v59, s0
	v_cmp_ngt_f32_e64 s0, 0xc2ce8ed0, v97
	v_add_f32_e32 v37, v37, v56
	v_pk_fma_f32 v[18:19], v[18:19], v[50:51], v[48:49]
	s_delay_alu instid0(VALU_DEP_2) | instskip(SKIP_2) | instid1(VALU_DEP_3)
	v_dual_cndmask_b32 v55, 0, v111, s0 :: v_dual_add_f32 v37, v37, v57
	v_cmp_nlt_f32_e64 s0, 0x42b17218, v96
	s_wait_dscnt 0x0
	v_pk_mul_f32 v[48:49], v[80:81], v[18:19]
	s_delay_alu instid0(VALU_DEP_3) | instskip(NEXT) | instid1(VALU_DEP_3)
	v_add_f32_e32 v37, v37, v52
	v_cndmask_b32_e64 v56, 0x7f800000, v47, s0
	v_cmp_nlt_f32_e64 s0, 0x42b17218, v97
	v_pk_mul_f32 v[46:47], v[46:47], v[74:75] op_sel_hi:[0,1]
	s_delay_alu instid0(VALU_DEP_4) | instskip(NEXT) | instid1(VALU_DEP_3)
	v_add_f32_e32 v37, v37, v53
	v_cndmask_b32_e64 v57, 0x7f800000, v55, s0
	s_ashr_i64 s[0:1], s[16:17], 30
	s_delay_alu instid0(VALU_DEP_2) | instskip(NEXT) | instid1(VALU_DEP_2)
	v_add_f32_e32 v37, v37, v48
	v_pk_fma_f32 v[20:21], v[20:21], v[56:57], v[46:47]
	s_delay_alu instid0(VALU_DEP_2) | instskip(SKIP_1) | instid1(VALU_DEP_3)
	v_add_f32_e32 v37, v37, v49
	v_add_nc_u64_e32 v[48:49], s[0:1], v[0:1]
	v_pk_mul_f32 v[46:47], v[82:83], v[20:21]
	s_delay_alu instid0(VALU_DEP_1) | instskip(NEXT) | instid1(VALU_DEP_1)
	v_add_f32_e32 v37, v37, v46
	v_add_f32_e32 v37, v37, v47
	global_store_b32 v[48:49], v37, off
	s_wait_storecnt 0x0
	s_barrier_signal -1
	s_barrier_wait -1
	s_wait_xcnt 0x0
	s_and_saveexec_b32 s0, vcc_lo
	s_cbranch_execz .LBB9_10
; %bb.9:
	v_lshl_add_u64 v[46:47], s[8:9], 3, v[40:41]
	v_lshl_add_u64 v[48:49], s[2:3], 3, v[38:39]
	global_load_b32 v37, v[46:47], off
	global_load_b32 v50, v[48:49], off
	s_wait_loadcnt 0x1
	ds_store_b32 v36, v37
	s_wait_loadcnt 0x0
	ds_store_b32 v54, v50
.LBB9_10:
	s_or_b32 exec_lo, exec_lo, s0
	s_lshl_b64 s[14:15], s[12:13], 2
	s_wait_dscnt 0x0
	v_add_nc_u64_e32 v[28:29], s[14:15], v[28:29]
	s_barrier_signal -1
	s_barrier_wait -1
	s_mov_b32 s1, exec_lo
	global_load_b32 v37, v[28:29], off
	s_wait_loadcnt 0x0
	v_cmpx_ge_f32_e32 0x41a00000, v37
	s_cbranch_execz .LBB9_12
; %bb.11:
	v_mul_f32_e32 v46, 0x3fb8aa3b, v37
	v_cmp_ngt_f32_e64 s0, 0xc2ce8ed0, v37
	s_delay_alu instid0(VALU_DEP_2) | instskip(SKIP_1) | instid1(VALU_DEP_2)
	v_rndne_f32_e32 v47, v46
	v_fma_f32 v48, 0x3fb8aa3b, v37, -v46
	v_sub_f32_e32 v46, v46, v47
	s_delay_alu instid0(VALU_DEP_2) | instskip(SKIP_1) | instid1(VALU_DEP_2)
	v_fmamk_f32 v48, v37, 0x32a5705f, v48
	v_cvt_i32_f32_e32 v47, v47
	v_add_f32_e32 v46, v46, v48
	s_delay_alu instid0(VALU_DEP_1) | instskip(SKIP_1) | instid1(TRANS32_DEP_1)
	v_exp_f32_e32 v46, v46
	v_nop
	v_ldexp_f32 v46, v46, v47
	s_delay_alu instid0(VALU_DEP_1) | instskip(SKIP_1) | instid1(VALU_DEP_1)
	v_cndmask_b32_e64 v46, 0, v46, s0
	v_cmp_nlt_f32_e64 s0, 0x42b17218, v37
	v_cndmask_b32_e64 v55, 0x7f800000, v46, s0
	s_delay_alu instid0(VALU_DEP_1) | instskip(NEXT) | instid1(VALU_DEP_1)
	v_add_f32_e32 v37, 1.0, v55
	v_cvt_f64_f32_e32 v[46:47], v37
	s_delay_alu instid0(VALU_DEP_1) | instskip(SKIP_1) | instid1(VALU_DEP_1)
	v_frexp_exp_i32_f64_e32 v46, v[46:47]
	v_frexp_mant_f32_e32 v47, v37
	v_cmp_gt_f32_e64 s0, 0x3f2aaaab, v47
	s_delay_alu instid0(VALU_DEP_1) | instskip(SKIP_2) | instid1(VALU_DEP_1)
	v_subrev_co_ci_u32_e64 v52, null, 0, v46, s0
	v_add_f32_e32 v46, -1.0, v37
	s_mov_b32 s0, 0x3e9b6dac
	v_dual_sub_f32 v48, v46, v37 :: v_dual_sub_nc_u32 v47, 0, v52
	s_delay_alu instid0(VALU_DEP_1) | instskip(NEXT) | instid1(VALU_DEP_1)
	v_ldexp_f32 v37, v37, v47
	v_dual_add_f32 v49, 1.0, v37 :: v_dual_add_f32 v51, -1.0, v37
	s_delay_alu instid0(VALU_DEP_3) | instskip(NEXT) | instid1(VALU_DEP_1)
	v_dual_sub_f32 v46, v55, v46 :: v_dual_add_f32 v48, 1.0, v48
	v_dual_add_f32 v46, v46, v48 :: v_dual_add_f32 v48, -1.0, v49
	s_delay_alu instid0(VALU_DEP_1) | instskip(NEXT) | instid1(VALU_DEP_2)
	v_ldexp_f32 v46, v46, v47
	v_sub_f32_e32 v47, v37, v48
	s_delay_alu instid0(VALU_DEP_1) | instskip(NEXT) | instid1(VALU_DEP_1)
	v_add_f32_e32 v50, v46, v47
	v_dual_add_f32 v48, 1.0, v51 :: v_dual_add_f32 v53, v49, v50
	s_delay_alu instid0(VALU_DEP_1) | instskip(NEXT) | instid1(VALU_DEP_2)
	v_sub_f32_e32 v37, v37, v48
	v_rcp_f32_e32 v56, v53
	s_delay_alu instid0(VALU_DEP_1) | instskip(SKIP_1) | instid1(VALU_DEP_1)
	v_add_f32_e32 v37, v46, v37
	v_sub_f32_e32 v46, v49, v53
	v_dual_add_f32 v47, v51, v37 :: v_dual_add_f32 v58, v50, v46
	s_delay_alu instid0(TRANS32_DEP_1) | instid1(VALU_DEP_1)
	v_mul_f32_e32 v57, v47, v56
	s_delay_alu instid0(VALU_DEP_1) | instskip(NEXT) | instid1(VALU_DEP_1)
	v_dual_sub_f32 v59, v51, v47 :: v_dual_mul_f32 v48, v53, v57
	v_add_f32_e32 v37, v37, v59
	s_delay_alu instid0(VALU_DEP_2) | instskip(NEXT) | instid1(VALU_DEP_1)
	v_fma_f32 v50, v57, v53, -v48
	v_fmac_f32_e32 v50, v57, v58
	s_delay_alu instid0(VALU_DEP_1) | instskip(NEXT) | instid1(VALU_DEP_1)
	v_add_f32_e32 v46, v48, v50
	v_dual_sub_f32 v49, v47, v46 :: v_dual_mov_b32 v51, v46
	s_delay_alu instid0(VALU_DEP_1) | instskip(NEXT) | instid1(VALU_DEP_1)
	v_pk_add_f32 v[46:47], v[46:47], v[48:49] neg_lo:[0,1] neg_hi:[0,1]
	v_pk_add_f32 v[46:47], v[46:47], v[50:51] neg_lo:[0,1] neg_hi:[0,1]
	s_delay_alu instid0(VALU_DEP_1) | instskip(NEXT) | instid1(VALU_DEP_1)
	v_add_f32_e32 v37, v37, v47
	v_add_f32_e32 v37, v46, v37
	s_delay_alu instid0(VALU_DEP_1) | instskip(NEXT) | instid1(VALU_DEP_1)
	v_add_f32_e32 v47, v49, v37
	v_mul_f32_e32 v59, v56, v47
	s_delay_alu instid0(VALU_DEP_1) | instskip(NEXT) | instid1(VALU_DEP_1)
	v_mul_f32_e32 v50, v53, v59
	v_fma_f32 v48, v59, v53, -v50
	s_delay_alu instid0(VALU_DEP_1) | instskip(NEXT) | instid1(VALU_DEP_1)
	v_dual_fmac_f32 v48, v59, v58 :: v_dual_sub_f32 v53, v49, v47
	v_dual_add_f32 v46, v50, v48 :: v_dual_add_f32 v37, v37, v53
	s_delay_alu instid0(VALU_DEP_1) | instskip(NEXT) | instid1(VALU_DEP_1)
	v_dual_sub_f32 v51, v47, v46 :: v_dual_mov_b32 v49, v46
	v_pk_add_f32 v[46:47], v[46:47], v[50:51] neg_lo:[0,1] neg_hi:[0,1]
	s_delay_alu instid0(VALU_DEP_1) | instskip(SKIP_1) | instid1(VALU_DEP_2)
	v_pk_add_f32 v[46:47], v[46:47], v[48:49] neg_lo:[0,1] neg_hi:[0,1]
	v_cvt_f32_i32_e32 v48, v52
	v_add_f32_e32 v37, v37, v47
	s_delay_alu instid0(VALU_DEP_1) | instskip(NEXT) | instid1(VALU_DEP_1)
	v_dual_add_f32 v50, v57, v59 :: v_dual_add_f32 v37, v46, v37
	v_sub_f32_e32 v46, v50, v57
	s_delay_alu instid0(VALU_DEP_2) | instskip(NEXT) | instid1(VALU_DEP_1)
	v_add_f32_e32 v37, v51, v37
	v_dual_sub_f32 v46, v59, v46 :: v_dual_mul_f32 v37, v56, v37
	s_delay_alu instid0(VALU_DEP_1) | instskip(NEXT) | instid1(VALU_DEP_1)
	v_dual_add_f32 v37, v46, v37 :: v_dual_mov_b32 v46, 0x3f317218
	v_add_f32_e32 v51, v50, v37
	s_delay_alu instid0(VALU_DEP_1) | instskip(NEXT) | instid1(VALU_DEP_1)
	v_mul_f32_e32 v47, v51, v51
	v_fmaak_f32 v53, s0, v47, 0x3ecc95a3
	v_mul_f32_e32 v49, v51, v47
	v_cmp_neq_f32_e64 s0, 0x7f800000, v55
	s_delay_alu instid0(VALU_DEP_3) | instskip(NEXT) | instid1(VALU_DEP_1)
	v_fmaak_f32 v47, v47, v53, 0x3f2aaada
	v_pk_mul_f32 v[46:47], v[48:49], v[46:47]
	s_delay_alu instid0(VALU_DEP_1) | instskip(NEXT) | instid1(VALU_DEP_1)
	v_fma_f32 v52, 0x3f317218, v48, -v46
	v_fmamk_f32 v48, v48, 0xb102e308, v52
	v_ldexp_f32 v49, v51, 1
	v_sub_f32_e32 v52, v51, v50
	s_delay_alu instid0(VALU_DEP_2) | instskip(NEXT) | instid1(VALU_DEP_2)
	v_pk_add_f32 v[50:51], v[46:47], v[48:49]
	v_dual_sub_f32 v37, v37, v52 :: v_dual_mov_b32 v52, v46
	s_delay_alu instid0(VALU_DEP_2) | instskip(NEXT) | instid1(VALU_DEP_2)
	v_sub_f32_e32 v49, v51, v49
	v_ldexp_f32 v37, v37, 1
	v_mov_b32_e32 v62, v51
	s_delay_alu instid0(VALU_DEP_3) | instskip(SKIP_1) | instid1(VALU_DEP_2)
	v_sub_f32_e32 v49, v47, v49
	v_pk_add_f32 v[46:47], v[50:51], v[46:47] neg_lo:[0,1] neg_hi:[0,1]
	v_dual_add_f32 v53, v37, v49 :: v_dual_mov_b32 v49, v50
	s_delay_alu instid0(VALU_DEP_1) | instskip(NEXT) | instid1(VALU_DEP_1)
	v_pk_add_f32 v[56:57], v[50:51], v[52:53]
	v_mov_b32_e32 v47, v57
	s_delay_alu instid0(VALU_DEP_1) | instskip(SKIP_1) | instid1(VALU_DEP_2)
	v_pk_add_f32 v[58:59], v[48:49], v[46:47]
	v_pk_add_f32 v[46:47], v[48:49], v[46:47] neg_lo:[0,1] neg_hi:[0,1]
	v_dual_mov_b32 v52, v59 :: v_dual_mov_b32 v47, v59
	s_delay_alu instid0(VALU_DEP_1) | instskip(SKIP_1) | instid1(VALU_DEP_2)
	v_pk_add_f32 v[60:61], v[52:53], v[50:51] neg_lo:[0,1] neg_hi:[0,1]
	v_dual_mov_b32 v58, v57 :: v_dual_mov_b32 v51, v50
	v_dual_mov_b32 v50, v53 :: v_dual_mov_b32 v63, v60
	v_mov_b32_e32 v37, v60
	s_delay_alu instid0(VALU_DEP_2) | instskip(NEXT) | instid1(VALU_DEP_2)
	v_pk_add_f32 v[60:61], v[58:59], v[62:63] neg_lo:[0,1] neg_hi:[0,1]
	v_pk_add_f32 v[48:49], v[56:57], v[36:37] neg_lo:[0,1] neg_hi:[0,1]
	v_mov_b32_e32 v48, v46
	s_delay_alu instid0(VALU_DEP_3) | instskip(NEXT) | instid1(VALU_DEP_1)
	v_pk_add_f32 v[50:51], v[50:51], v[60:61] neg_lo:[0,1] neg_hi:[0,1]
	v_pk_add_f32 v[48:49], v[48:49], v[50:51]
	s_delay_alu instid0(VALU_DEP_1) | instskip(NEXT) | instid1(VALU_DEP_1)
	v_mov_b32_e32 v56, v49
	v_pk_add_f32 v[56:57], v[48:49], v[56:57]
	s_delay_alu instid0(VALU_DEP_1) | instskip(NEXT) | instid1(VALU_DEP_1)
	v_pk_add_f32 v[52:53], v[52:53], v[56:57]
	v_dual_mov_b32 v51, v56 :: v_dual_mov_b32 v49, v52
	s_delay_alu instid0(VALU_DEP_1) | instskip(NEXT) | instid1(VALU_DEP_1)
	v_pk_add_f32 v[58:59], v[48:49], v[46:47] neg_lo:[0,1] neg_hi:[0,1]
	v_sub_f32_e32 v37, v48, v58
	s_delay_alu instid0(VALU_DEP_2) | instskip(NEXT) | instid1(VALU_DEP_2)
	v_pk_add_f32 v[48:49], v[50:51], v[58:59] neg_lo:[0,1] neg_hi:[0,1]
	v_sub_f32_e32 v37, v46, v37
	s_delay_alu instid0(VALU_DEP_1) | instskip(NEXT) | instid1(VALU_DEP_1)
	v_add_f32_e32 v37, v48, v37
	v_add_f32_e32 v37, v37, v49
	s_delay_alu instid0(VALU_DEP_1) | instskip(NEXT) | instid1(VALU_DEP_1)
	v_add_f32_e32 v37, v52, v37
	v_cndmask_b32_e64 v37, 0x7f800000, v37, s0
	v_cmp_gt_f32_e64 s0, 0x33800000, v55
	s_delay_alu instid0(VALU_DEP_1)
	v_cndmask_b32_e64 v37, v37, v55, s0
.LBB9_12:
	s_or_b32 exec_lo, exec_lo, s1
	s_lshl_b64 s[12:13], s[22:23], 2
	s_delay_alu instid0(VALU_DEP_1)
	v_dual_mul_f32 v81, v37, v14 :: v_dual_mov_b32 v76, 0
	v_add_nc_u64_e32 v[44:45], s[12:13], v[44:45]
	v_dual_mul_f32 v83, v37, v15 :: v_dual_mul_f32 v84, v37, v16
	v_dual_mul_f32 v85, v37, v17 :: v_dual_mul_f32 v86, v37, v10
	;; [unrolled: 1-line block ×3, first 2 shown]
	global_load_b32 v55, v[44:45], off
	v_dual_mul_f32 v89, v37, v13 :: v_dual_mul_f32 v90, v37, v6
	v_dual_mul_f32 v93, v37, v9 :: v_dual_mul_f32 v94, v37, v2
	;; [unrolled: 1-line block ×6, first 2 shown]
	s_delay_alu instid0(VALU_DEP_3)
	v_dual_mul_f32 v102, 0x3fb8aa3b, v88 :: v_dual_mul_f32 v105, 0x3fb8aa3b, v91
	v_dual_mul_f32 v104, 0x3fb8aa3b, v90 :: v_dual_mul_f32 v107, 0x3fb8aa3b, v93
	v_fma_f32 v112, 0x3fb8aa3b, v81, -v80
	v_rndne_f32_e32 v113, v80
	v_dual_mul_f32 v95, v37, v3 :: v_dual_mul_f32 v96, v37, v4
	v_fma_f32 v114, 0x3fb8aa3b, v83, -v82
	v_rndne_f32_e32 v115, v82
	v_fma_f32 v118, 0x3fb8aa3b, v85, -v99
	v_rndne_f32_e32 v119, v99
	v_rndne_f32_e32 v123, v101
	;; [unrolled: 1-line block ×4, first 2 shown]
	v_fmac_f32_e32 v112, 0x32a5705f, v81
	v_dual_sub_f32 v80, v80, v113 :: v_dual_sub_f32 v82, v82, v115
	v_dual_mul_f32 v100, 0x3fb8aa3b, v86 :: v_dual_mul_f32 v103, 0x3fb8aa3b, v89
	v_dual_mul_f32 v108, 0x3fb8aa3b, v94 :: v_dual_mul_f32 v111, 0x3fb8aa3b, v97
	v_dual_mul_f32 v110, 0x3fb8aa3b, v96 :: v_dual_sub_f32 v99, v99, v119
	v_fma_f32 v116, 0x3fb8aa3b, v84, -v98
	v_rndne_f32_e32 v117, v98
	v_fma_f32 v122, 0x3fb8aa3b, v87, -v101
	v_fma_f32 v124, 0x3fb8aa3b, v88, -v102
	v_rndne_f32_e32 v129, v104
	v_fma_f32 v134, 0x3fb8aa3b, v93, -v107
	v_dual_fmac_f32 v118, 0x32a5705f, v85 :: v_dual_sub_f32 v107, v107, v135
	v_fmac_f32_e32 v114, 0x32a5705f, v83
	v_dual_sub_f32 v101, v101, v123 :: v_dual_sub_f32 v102, v102, v125
	v_add_f32_e32 v80, v80, v112
	v_rndne_f32_e32 v121, v100
	v_fma_f32 v142, 0x3fb8aa3b, v97, -v111
	v_rndne_f32_e32 v143, v111
	v_rndne_f32_e32 v127, v103
	v_fma_f32 v128, 0x3fb8aa3b, v90, -v104
	v_rndne_f32_e32 v131, v105
	v_rndne_f32_e32 v137, v108
	v_fmac_f32_e32 v116, 0x32a5705f, v84
	v_dual_sub_f32 v98, v98, v117 :: v_dual_add_f32 v99, v99, v118
	v_dual_sub_f32 v104, v104, v129 :: v_dual_add_f32 v82, v82, v114
	v_exp_f32_e32 v80, v80
	v_fma_f32 v120, 0x3fb8aa3b, v86, -v100
	v_fma_f32 v126, 0x3fb8aa3b, v89, -v103
	;; [unrolled: 1-line block ×3, first 2 shown]
	v_dual_sub_f32 v100, v100, v121 :: v_dual_sub_f32 v111, v111, v143
	v_cvt_i32_f32_e32 v113, v113
	v_fmac_f32_e32 v142, 0x32a5705f, v97
	v_fmac_f32_e32 v134, 0x32a5705f, v93
	v_dual_mul_f32 v106, 0x3fb8aa3b, v92 :: v_dual_mul_f32 v109, 0x3fb8aa3b, v95
	v_fma_f32 v136, 0x3fb8aa3b, v94, -v108
	v_sub_f32_e32 v103, v103, v127
	v_dual_sub_f32 v105, v105, v131 :: v_dual_sub_f32 v108, v108, v137
	v_add_f32_e32 v98, v98, v116
	v_exp_f32_e32 v82, v82
	v_exp_f32_e32 v99, v99
	v_cvt_i32_f32_e32 v115, v115
	v_cvt_i32_f32_e32 v119, v119
	v_dual_add_f32 v111, v111, v142 :: v_dual_fmac_f32 v130, 0x32a5705f, v91
	v_dual_add_f32 v107, v107, v134 :: v_dual_fmac_f32 v126, 0x32a5705f, v89
	v_ldexp_f32 v80, v80, v113
	v_cmp_ngt_f32_e64 s0, 0xc2ce8ed0, v81
	v_rndne_f32_e32 v133, v106
	v_rndne_f32_e32 v139, v109
	v_fmac_f32_e32 v120, 0x32a5705f, v86
	v_exp_f32_e32 v98, v98
	v_fma_f32 v132, 0x3fb8aa3b, v92, -v106
	v_fma_f32 v138, 0x3fb8aa3b, v95, -v109
	v_cvt_i32_f32_e32 v117, v117
	v_dual_add_f32 v105, v105, v130 :: v_dual_fmac_f32 v122, 0x32a5705f, v87
	v_dual_add_f32 v103, v103, v126 :: v_dual_fmac_f32 v124, 0x32a5705f, v88
	v_ldexp_f32 v82, v82, v115
	v_ldexp_f32 v99, v99, v119
	v_cndmask_b32_e64 v112, 0, v80, s0
	v_cmp_ngt_f32_e64 s0, 0xc2ce8ed0, v83
	v_dual_sub_f32 v109, v109, v139 :: v_dual_sub_f32 v106, v106, v133
	v_add_f32_e32 v100, v100, v120
	ds_load_b128 v[46:49], v76
	ds_load_b128 v[50:53], v76 offset:16
	ds_load_b128 v[56:59], v76 offset:32
	;; [unrolled: 1-line block ×7, first 2 shown]
	v_fmac_f32_e32 v138, 0x32a5705f, v95
	v_dual_fmac_f32 v132, 0x32a5705f, v92 :: v_dual_add_f32 v101, v101, v122
	v_dual_add_f32 v102, v102, v124 :: v_dual_cndmask_b32 v113, 0, v82, s0
	v_ldexp_f32 v98, v98, v117
	v_cmp_ngt_f32_e64 s0, 0xc2ce8ed0, v84
	v_exp_f32_e32 v100, v100
	v_cvt_i32_f32_e32 v121, v121
	v_dual_add_f32 v109, v109, v138 :: v_dual_add_f32 v106, v106, v132
	s_delay_alu instid0(VALU_DEP_3)
	v_cndmask_b32_e64 v98, 0, v98, s0
	v_cmp_ngt_f32_e64 s0, 0xc2ce8ed0, v85
	v_exp_f32_e32 v101, v101
	v_cvt_i32_f32_e32 v123, v123
	v_ldexp_f32 v100, v100, v121
	v_rndne_f32_e32 v141, v110
	v_cndmask_b32_e64 v99, 0, v99, s0
	v_cmp_ngt_f32_e64 s0, 0xc2ce8ed0, v86
	v_fmac_f32_e32 v128, 0x32a5705f, v90
	v_exp_f32_e32 v102, v102
	v_cvt_i32_f32_e32 v125, v125
	v_ldexp_f32 v101, v101, v123
	v_cndmask_b32_e64 v100, 0, v100, s0
	v_cmp_ngt_f32_e64 s0, 0xc2ce8ed0, v87
	v_fma_f32 v140, 0x3fb8aa3b, v96, -v110
	v_dual_sub_f32 v110, v110, v141 :: v_dual_add_f32 v104, v104, v128
	v_exp_f32_e32 v103, v103
	v_cvt_i32_f32_e32 v127, v127
	v_ldexp_f32 v102, v102, v125
	v_cndmask_b32_e64 v101, 0, v101, s0
	v_cmp_ngt_f32_e64 s0, 0xc2ce8ed0, v88
	v_exp_f32_e32 v104, v104
	v_cvt_i32_f32_e32 v129, v129
	v_ldexp_f32 v103, v103, v127
	v_exp_f32_e32 v105, v105
	v_cndmask_b32_e64 v102, 0, v102, s0
	v_cmp_ngt_f32_e64 s0, 0xc2ce8ed0, v89
	v_cvt_i32_f32_e32 v131, v131
	v_ldexp_f32 v104, v104, v129
	v_exp_f32_e32 v106, v106
	v_cvt_i32_f32_e32 v133, v133
	v_cndmask_b32_e64 v103, 0, v103, s0
	v_cmp_ngt_f32_e64 s0, 0xc2ce8ed0, v90
	v_ldexp_f32 v105, v105, v131
	v_exp_f32_e32 v107, v107
	v_cvt_i32_f32_e32 v135, v135
	v_ldexp_f32 v106, v106, v133
	v_cndmask_b32_e64 v104, 0, v104, s0
	v_cmp_ngt_f32_e64 s0, 0xc2ce8ed0, v91
	v_cvt_i32_f32_e32 v137, v137
	v_exp_f32_e32 v109, v109
	v_ldexp_f32 v107, v107, v135
	v_cvt_i32_f32_e32 v139, v139
	v_cndmask_b32_e64 v105, 0, v105, s0
	v_cmp_nlt_f32_e64 s0, 0x42b17218, v81
	v_cvt_i32_f32_e32 v141, v141
	v_exp_f32_e32 v111, v111
	v_ldexp_f32 v109, v109, v139
	v_cvt_i32_f32_e32 v143, v143
	v_cndmask_b32_e64 v82, 0x7f800000, v112, s0
	v_cmp_nlt_f32_e64 s0, 0x42b17218, v83
	s_delay_alu instid0(TRANS32_DEP_1) | instid1(VALU_DEP_3)
	v_ldexp_f32 v111, v111, v143
	s_delay_alu instid0(VALU_DEP_2) | instskip(SKIP_2) | instid1(VALU_DEP_1)
	v_cndmask_b32_e64 v83, 0x7f800000, v113, s0
	v_cmp_ngt_f32_e64 s0, 0xc2ce8ed0, v92
	s_wait_loadcnt 0x0
	v_dual_mul_f32 v80, v37, v55 :: v_dual_cndmask_b32 v37, 0, v106, s0
	v_cmp_nlt_f32_e64 s0, 0x42b17218, v84
	s_wait_dscnt 0x7
	s_delay_alu instid0(VALU_DEP_2) | instskip(SKIP_1) | instid1(VALU_DEP_3)
	v_pk_mul_f32 v[46:47], v[80:81], v[46:47] op_sel_hi:[0,1]
	v_pk_mul_f32 v[48:49], v[80:81], v[48:49] op_sel_hi:[0,1]
	v_cndmask_b32_e64 v84, 0x7f800000, v98, s0
	v_cmp_nlt_f32_e64 s0, 0x42b17218, v85
	s_wait_dscnt 0x6
	v_pk_mul_f32 v[50:51], v[80:81], v[50:51] op_sel_hi:[0,1]
	v_pk_fma_f32 v[42:43], v[42:43], v[82:83], v[46:47]
	s_delay_alu instid0(VALU_DEP_3) | instskip(SKIP_2) | instid1(VALU_DEP_3)
	v_cndmask_b32_e64 v85, 0x7f800000, v99, s0
	v_cmp_nlt_f32_e64 s0, 0x42b17218, v86
	s_wait_dscnt 0x3
	v_fma_f32 v55, v64, v42, 0
	s_delay_alu instid0(VALU_DEP_3) | instskip(NEXT) | instid1(VALU_DEP_3)
	v_pk_fma_f32 v[32:33], v[32:33], v[84:85], v[48:49]
	v_cndmask_b32_e64 v46, 0x7f800000, v100, s0
	v_cmp_nlt_f32_e64 s0, 0x42b17218, v87
	s_delay_alu instid0(VALU_DEP_4) | instskip(NEXT) | instid1(VALU_DEP_2)
	v_dual_fmac_f32 v55, v65, v43 :: v_dual_fmac_f32 v136, 0x32a5705f, v94
	v_cndmask_b32_e64 v47, 0x7f800000, v101, s0
	v_cmp_ngt_f32_e64 s0, 0xc2ce8ed0, v93
	s_delay_alu instid0(VALU_DEP_3) | instskip(NEXT) | instid1(VALU_DEP_4)
	v_fmac_f32_e32 v55, v66, v32
	v_add_f32_e32 v108, v108, v136
	s_delay_alu instid0(VALU_DEP_4) | instskip(NEXT) | instid1(VALU_DEP_4)
	v_pk_fma_f32 v[30:31], v[30:31], v[46:47], v[50:51]
	v_cndmask_b32_e64 v64, 0, v107, s0
	v_cmp_nlt_f32_e64 s0, 0x42b17218, v88
	s_delay_alu instid0(VALU_DEP_4)
	v_exp_f32_e32 v108, v108
	v_fmac_f32_e32 v55, v67, v33
	s_wait_dscnt 0x2
	v_pk_mul_f32 v[50:51], v[68:69], v[30:31]
	v_pk_mul_f32 v[46:47], v[80:81], v[52:53] op_sel_hi:[0,1]
	v_cndmask_b32_e64 v48, 0x7f800000, v102, s0
	v_cmp_nlt_f32_e64 s0, 0x42b17218, v89
	v_ldexp_f32 v108, v108, v137
	v_add_f32_e32 v50, v55, v50
	v_fmac_f32_e32 v140, 0x32a5705f, v96
	s_delay_alu instid0(VALU_DEP_4) | instskip(SKIP_1) | instid1(VALU_DEP_4)
	v_cndmask_b32_e64 v49, 0x7f800000, v103, s0
	v_cmp_ngt_f32_e64 s0, 0xc2ce8ed0, v94
	v_add_f32_e32 v51, v50, v51
	s_delay_alu instid0(VALU_DEP_3) | instskip(NEXT) | instid1(VALU_DEP_3)
	v_pk_fma_f32 v[46:47], v[26:27], v[48:49], v[46:47]
	v_cndmask_b32_e64 v65, 0, v108, s0
	v_cmp_nlt_f32_e64 s0, 0x42b17218, v90
	v_pk_mul_f32 v[26:27], v[80:81], v[56:57] op_sel_hi:[0,1]
	s_delay_alu instid0(VALU_DEP_4) | instskip(NEXT) | instid1(VALU_DEP_3)
	v_pk_mul_f32 v[48:49], v[70:71], v[46:47]
	v_cndmask_b32_e64 v52, 0x7f800000, v104, s0
	v_cmp_nlt_f32_e64 s0, 0x42b17218, v91
	s_delay_alu instid0(VALU_DEP_1) | instskip(SKIP_2) | instid1(VALU_DEP_3)
	v_cndmask_b32_e64 v53, 0x7f800000, v105, s0
	v_cmp_ngt_f32_e64 s0, 0xc2ce8ed0, v95
	v_add_f32_e32 v110, v110, v140
	v_pk_fma_f32 v[22:23], v[22:23], v[52:53], v[26:27]
	s_delay_alu instid0(VALU_DEP_3) | instskip(SKIP_1) | instid1(VALU_DEP_4)
	v_cndmask_b32_e64 v55, 0, v109, s0
	v_cmp_nlt_f32_e64 s0, 0x42b17218, v92
	v_exp_f32_e32 v110, v110
	v_pk_mul_f32 v[26:27], v[80:81], v[58:59] op_sel_hi:[0,1]
	s_wait_dscnt 0x1
	v_pk_mul_f32 v[52:53], v[72:73], v[22:23]
	v_cndmask_b32_e64 v50, 0x7f800000, v37, s0
	v_cmp_nlt_f32_e64 s0, 0x42b17218, v93
	v_add_f32_e32 v37, v51, v48
	v_ldexp_f32 v110, v110, v141
	s_delay_alu instid0(VALU_DEP_3) | instskip(SKIP_1) | instid1(VALU_DEP_4)
	v_cndmask_b32_e64 v51, 0x7f800000, v64, s0
	v_cmp_ngt_f32_e64 s0, 0xc2ce8ed0, v96
	v_add_f32_e32 v37, v37, v49
	s_delay_alu instid0(VALU_DEP_3) | instskip(NEXT) | instid1(VALU_DEP_3)
	v_pk_fma_f32 v[24:25], v[24:25], v[50:51], v[26:27]
	v_cndmask_b32_e64 v56, 0, v110, s0
	v_cmp_nlt_f32_e64 s0, 0x42b17218, v94
	v_pk_mul_f32 v[26:27], v[80:81], v[60:61] op_sel_hi:[0,1]
	s_delay_alu instid0(VALU_DEP_4) | instskip(NEXT) | instid1(VALU_DEP_3)
	v_pk_mul_f32 v[50:51], v[74:75], v[24:25]
	v_cndmask_b32_e64 v48, 0x7f800000, v65, s0
	v_cmp_nlt_f32_e64 s0, 0x42b17218, v95
	s_delay_alu instid0(VALU_DEP_1) | instskip(SKIP_2) | instid1(VALU_DEP_3)
	v_cndmask_b32_e64 v49, 0x7f800000, v55, s0
	v_cmp_ngt_f32_e64 s0, 0xc2ce8ed0, v97
	v_add_f32_e32 v37, v37, v52
	v_pk_fma_f32 v[18:19], v[18:19], v[48:49], v[26:27]
	v_pk_mul_f32 v[26:27], v[80:81], v[62:63] op_sel_hi:[0,1]
	s_delay_alu instid0(VALU_DEP_3) | instskip(SKIP_3) | instid1(VALU_DEP_3)
	v_dual_add_f32 v37, v37, v53 :: v_dual_cndmask_b32 v53, 0, v111, s0
	v_cmp_nlt_f32_e64 s0, 0x42b17218, v96
	s_wait_dscnt 0x0
	v_pk_mul_f32 v[48:49], v[76:77], v[18:19]
	v_add_f32_e32 v37, v37, v50
	s_delay_alu instid0(VALU_DEP_3) | instskip(SKIP_1) | instid1(VALU_DEP_3)
	v_cndmask_b32_e64 v52, 0x7f800000, v56, s0
	v_cmp_nlt_f32_e64 s0, 0x42b17218, v97
	v_add_f32_e32 v37, v37, v51
	s_delay_alu instid0(VALU_DEP_2) | instskip(SKIP_1) | instid1(VALU_DEP_2)
	v_cndmask_b32_e64 v53, 0x7f800000, v53, s0
	s_ashr_i64 s[0:1], s[16:17], 29
	v_add_f32_e32 v37, v37, v48
	s_delay_alu instid0(VALU_DEP_2) | instskip(NEXT) | instid1(VALU_DEP_2)
	v_pk_fma_f32 v[20:21], v[20:21], v[52:53], v[26:27]
	v_add_f32_e32 v37, v37, v49
	v_add_nc_u64_e32 v[48:49], s[0:1], v[0:1]
	s_delay_alu instid0(VALU_DEP_3) | instskip(NEXT) | instid1(VALU_DEP_1)
	v_pk_mul_f32 v[26:27], v[78:79], v[20:21]
	v_add_f32_e32 v26, v37, v26
	s_delay_alu instid0(VALU_DEP_1)
	v_add_f32_e32 v26, v26, v27
	global_store_b32 v[48:49], v26, off
	s_wait_storecnt 0x0
	s_barrier_signal -1
	s_barrier_wait -1
	s_wait_xcnt 0x0
	s_and_saveexec_b32 s0, vcc_lo
	s_cbranch_execz .LBB9_14
; %bb.13:
	v_mad_nc_i64_i32 v[26:27], s8, 12, v[40:41]
	v_mad_nc_i64_i32 v[48:49], s2, 12, v[38:39]
	global_load_b32 v37, v[26:27], off
	global_load_b32 v50, v[48:49], off
	s_wait_loadcnt 0x1
	ds_store_b32 v36, v37
	s_wait_loadcnt 0x0
	ds_store_b32 v54, v50
.LBB9_14:
	s_or_b32 exec_lo, exec_lo, s0
	v_add_nc_u64_e32 v[48:49], s[14:15], v[28:29]
	s_wait_dscnt 0x0
	s_barrier_signal -1
	s_barrier_wait -1
	s_bfe_i64 s[6:7], s[6:7], 0x200000
	s_mov_b32 s1, exec_lo
	global_load_b32 v26, v[48:49], off
	s_wait_loadcnt 0x0
	v_cmpx_ge_f32_e32 0x41a00000, v26
	s_cbranch_execz .LBB9_16
; %bb.15:
	v_mul_f32_e32 v27, 0x3fb8aa3b, v26
	v_cmp_ngt_f32_e64 s0, 0xc2ce8ed0, v26
	s_delay_alu instid0(VALU_DEP_2) | instskip(SKIP_1) | instid1(VALU_DEP_2)
	v_rndne_f32_e32 v28, v27
	v_fma_f32 v29, 0x3fb8aa3b, v26, -v27
	v_sub_f32_e32 v27, v27, v28
	s_delay_alu instid0(VALU_DEP_2) | instskip(SKIP_1) | instid1(VALU_DEP_2)
	v_fmamk_f32 v29, v26, 0x32a5705f, v29
	v_cvt_i32_f32_e32 v28, v28
	v_add_f32_e32 v27, v27, v29
	s_delay_alu instid0(VALU_DEP_1) | instskip(SKIP_1) | instid1(TRANS32_DEP_1)
	v_exp_f32_e32 v27, v27
	v_nop
	v_ldexp_f32 v27, v27, v28
	s_delay_alu instid0(VALU_DEP_1) | instskip(SKIP_1) | instid1(VALU_DEP_1)
	v_cndmask_b32_e64 v27, 0, v27, s0
	v_cmp_nlt_f32_e64 s0, 0x42b17218, v26
	v_cndmask_b32_e64 v55, 0x7f800000, v27, s0
	s_delay_alu instid0(VALU_DEP_1) | instskip(NEXT) | instid1(VALU_DEP_1)
	v_add_f32_e32 v28, 1.0, v55
	v_cvt_f64_f32_e32 v[26:27], v28
	s_delay_alu instid0(VALU_DEP_1) | instskip(SKIP_1) | instid1(VALU_DEP_1)
	v_frexp_exp_i32_f64_e32 v26, v[26:27]
	v_frexp_mant_f32_e32 v27, v28
	v_cmp_gt_f32_e64 s0, 0x3f2aaaab, v27
	s_delay_alu instid0(VALU_DEP_1) | instskip(SKIP_2) | instid1(VALU_DEP_1)
	v_subrev_co_ci_u32_e64 v37, null, 0, v26, s0
	v_add_f32_e32 v26, -1.0, v28
	s_mov_b32 s0, 0x3e9b6dac
	v_dual_sub_nc_u32 v27, 0, v37 :: v_dual_sub_f32 v29, v26, v28
	v_sub_f32_e32 v26, v55, v26
	s_delay_alu instid0(VALU_DEP_2) | instskip(NEXT) | instid1(VALU_DEP_1)
	v_ldexp_f32 v28, v28, v27
	v_dual_add_f32 v29, 1.0, v29 :: v_dual_add_f32 v50, 1.0, v28
	s_delay_alu instid0(VALU_DEP_1) | instskip(SKIP_1) | instid1(VALU_DEP_2)
	v_dual_add_f32 v26, v26, v29 :: v_dual_add_f32 v29, -1.0, v50
	v_add_f32_e32 v51, -1.0, v28
	v_ldexp_f32 v26, v26, v27
	s_delay_alu instid0(VALU_DEP_3) | instskip(NEXT) | instid1(VALU_DEP_1)
	v_sub_f32_e32 v27, v28, v29
	v_add_f32_e32 v52, v26, v27
	s_delay_alu instid0(VALU_DEP_1) | instskip(NEXT) | instid1(VALU_DEP_1)
	v_dual_add_f32 v29, 1.0, v51 :: v_dual_add_f32 v53, v50, v52
	v_sub_f32_e32 v27, v28, v29
	s_delay_alu instid0(VALU_DEP_2) | instskip(NEXT) | instid1(VALU_DEP_1)
	v_rcp_f32_e32 v57, v53
	v_add_f32_e32 v56, v26, v27
	s_delay_alu instid0(VALU_DEP_1)
	v_dual_sub_f32 v26, v50, v53 :: v_dual_add_f32 v27, v51, v56
	s_delay_alu instid0(TRANS32_DEP_1) | instid1(VALU_DEP_1)
	v_dual_mul_f32 v58, v27, v57 :: v_dual_add_f32 v52, v52, v26
	s_delay_alu instid0(VALU_DEP_1) | instskip(NEXT) | instid1(VALU_DEP_1)
	v_dual_sub_f32 v59, v51, v27 :: v_dual_mul_f32 v28, v53, v58
	v_fma_f32 v50, v58, v53, -v28
	s_delay_alu instid0(VALU_DEP_1) | instskip(NEXT) | instid1(VALU_DEP_1)
	v_fmac_f32_e32 v50, v58, v52
	v_add_f32_e32 v26, v28, v50
	s_delay_alu instid0(VALU_DEP_1) | instskip(NEXT) | instid1(VALU_DEP_1)
	v_dual_sub_f32 v29, v27, v26 :: v_dual_mov_b32 v51, v26
	v_pk_add_f32 v[26:27], v[26:27], v[28:29] neg_lo:[0,1] neg_hi:[0,1]
	v_add_f32_e32 v28, v56, v59
	s_delay_alu instid0(VALU_DEP_2) | instskip(NEXT) | instid1(VALU_DEP_1)
	v_pk_add_f32 v[26:27], v[26:27], v[50:51] neg_lo:[0,1] neg_hi:[0,1]
	v_add_f32_e32 v27, v28, v27
	s_delay_alu instid0(VALU_DEP_1) | instskip(NEXT) | instid1(VALU_DEP_1)
	v_add_f32_e32 v56, v26, v27
	v_add_f32_e32 v27, v29, v56
	s_delay_alu instid0(VALU_DEP_1) | instskip(NEXT) | instid1(VALU_DEP_1)
	v_mul_f32_e32 v59, v57, v27
	v_mul_f32_e32 v50, v53, v59
	s_delay_alu instid0(VALU_DEP_1) | instskip(NEXT) | instid1(VALU_DEP_1)
	v_fma_f32 v28, v59, v53, -v50
	v_dual_fmac_f32 v28, v59, v52 :: v_dual_sub_f32 v52, v29, v27
	s_delay_alu instid0(VALU_DEP_1) | instskip(NEXT) | instid1(VALU_DEP_1)
	v_add_f32_e32 v26, v50, v28
	v_dual_sub_f32 v51, v27, v26 :: v_dual_mov_b32 v29, v26
	s_delay_alu instid0(VALU_DEP_1) | instskip(NEXT) | instid1(VALU_DEP_1)
	v_pk_add_f32 v[26:27], v[26:27], v[50:51] neg_lo:[0,1] neg_hi:[0,1]
	v_pk_add_f32 v[26:27], v[26:27], v[28:29] neg_lo:[0,1] neg_hi:[0,1]
	v_add_f32_e32 v50, v56, v52
	v_cvt_f32_i32_e32 v28, v37
	s_delay_alu instid0(VALU_DEP_2) | instskip(NEXT) | instid1(VALU_DEP_1)
	v_add_f32_e32 v27, v50, v27
	v_add_f32_e32 v26, v26, v27
	s_delay_alu instid0(VALU_DEP_1) | instskip(NEXT) | instid1(VALU_DEP_1)
	v_dual_add_f32 v26, v51, v26 :: v_dual_add_f32 v50, v58, v59
	v_mul_f32_e32 v26, v57, v26
	s_delay_alu instid0(VALU_DEP_2) | instskip(NEXT) | instid1(VALU_DEP_1)
	v_sub_f32_e32 v27, v50, v58
	v_sub_f32_e32 v27, v59, v27
	s_delay_alu instid0(VALU_DEP_1) | instskip(NEXT) | instid1(VALU_DEP_1)
	v_add_f32_e32 v52, v27, v26
	v_dual_mov_b32 v26, 0x3f317218 :: v_dual_add_f32 v51, v50, v52
	s_delay_alu instid0(VALU_DEP_1) | instskip(NEXT) | instid1(VALU_DEP_1)
	v_mul_f32_e32 v27, v51, v51
	v_fmaak_f32 v53, s0, v27, 0x3ecc95a3
	v_mul_f32_e32 v29, v51, v27
	v_cmp_neq_f32_e64 s0, 0x7f800000, v55
	s_delay_alu instid0(VALU_DEP_3) | instskip(NEXT) | instid1(VALU_DEP_1)
	v_fmaak_f32 v27, v27, v53, 0x3f2aaada
	v_pk_mul_f32 v[26:27], v[28:29], v[26:27]
	v_ldexp_f32 v29, v51, 1
	s_delay_alu instid0(VALU_DEP_2) | instskip(NEXT) | instid1(VALU_DEP_1)
	v_fma_f32 v37, 0x3f317218, v28, -v26
	v_dual_fmamk_f32 v28, v28, 0xb102e308, v37 :: v_dual_sub_f32 v37, v51, v50
	s_delay_alu instid0(VALU_DEP_1) | instskip(NEXT) | instid1(VALU_DEP_2)
	v_pk_add_f32 v[50:51], v[26:27], v[28:29]
	v_dual_sub_f32 v37, v52, v37 :: v_dual_mov_b32 v52, v26
	s_delay_alu instid0(VALU_DEP_2) | instskip(NEXT) | instid1(VALU_DEP_2)
	v_sub_f32_e32 v29, v51, v29
	v_ldexp_f32 v37, v37, 1
	s_delay_alu instid0(VALU_DEP_2) | instskip(SKIP_1) | instid1(VALU_DEP_2)
	v_sub_f32_e32 v29, v27, v29
	v_pk_add_f32 v[26:27], v[50:51], v[26:27] neg_lo:[0,1] neg_hi:[0,1]
	v_dual_add_f32 v53, v37, v29 :: v_dual_mov_b32 v29, v50
	s_delay_alu instid0(VALU_DEP_1) | instskip(NEXT) | instid1(VALU_DEP_1)
	v_pk_add_f32 v[56:57], v[50:51], v[52:53]
	v_mov_b32_e32 v27, v57
	s_delay_alu instid0(VALU_DEP_1) | instskip(SKIP_2) | instid1(VALU_DEP_3)
	v_pk_add_f32 v[58:59], v[28:29], v[26:27]
	v_mov_b32_e32 v58, v57
	v_pk_add_f32 v[26:27], v[28:29], v[26:27] neg_lo:[0,1] neg_hi:[0,1]
	v_dual_mov_b32 v52, v59 :: v_dual_mov_b32 v27, v59
	s_delay_alu instid0(VALU_DEP_1) | instskip(SKIP_1) | instid1(VALU_DEP_2)
	v_pk_add_f32 v[60:61], v[52:53], v[50:51] neg_lo:[0,1] neg_hi:[0,1]
	v_dual_mov_b32 v62, v51 :: v_dual_mov_b32 v51, v50
	v_dual_mov_b32 v50, v53 :: v_dual_mov_b32 v63, v60
	v_mov_b32_e32 v37, v60
	s_delay_alu instid0(VALU_DEP_2) | instskip(NEXT) | instid1(VALU_DEP_2)
	v_pk_add_f32 v[60:61], v[58:59], v[62:63] neg_lo:[0,1] neg_hi:[0,1]
	v_pk_add_f32 v[28:29], v[56:57], v[36:37] neg_lo:[0,1] neg_hi:[0,1]
	v_mov_b32_e32 v28, v26
	s_delay_alu instid0(VALU_DEP_3) | instskip(NEXT) | instid1(VALU_DEP_1)
	v_pk_add_f32 v[50:51], v[50:51], v[60:61] neg_lo:[0,1] neg_hi:[0,1]
	v_pk_add_f32 v[28:29], v[28:29], v[50:51]
	s_delay_alu instid0(VALU_DEP_1) | instskip(NEXT) | instid1(VALU_DEP_1)
	v_mov_b32_e32 v56, v29
	v_pk_add_f32 v[56:57], v[28:29], v[56:57]
	s_delay_alu instid0(VALU_DEP_1) | instskip(NEXT) | instid1(VALU_DEP_1)
	v_pk_add_f32 v[52:53], v[52:53], v[56:57]
	v_dual_mov_b32 v51, v56 :: v_dual_mov_b32 v29, v52
	s_delay_alu instid0(VALU_DEP_1) | instskip(NEXT) | instid1(VALU_DEP_1)
	v_pk_add_f32 v[58:59], v[28:29], v[26:27] neg_lo:[0,1] neg_hi:[0,1]
	v_sub_f32_e32 v27, v28, v58
	s_delay_alu instid0(VALU_DEP_2) | instskip(NEXT) | instid1(VALU_DEP_2)
	v_pk_add_f32 v[28:29], v[50:51], v[58:59] neg_lo:[0,1] neg_hi:[0,1]
	v_sub_f32_e32 v26, v26, v27
	s_delay_alu instid0(VALU_DEP_1) | instskip(NEXT) | instid1(VALU_DEP_1)
	v_add_f32_e32 v26, v28, v26
	v_add_f32_e32 v26, v26, v29
	s_delay_alu instid0(VALU_DEP_1) | instskip(NEXT) | instid1(VALU_DEP_1)
	v_add_f32_e32 v26, v52, v26
	v_cndmask_b32_e64 v26, 0x7f800000, v26, s0
	v_cmp_gt_f32_e64 s0, 0x33800000, v55
	s_delay_alu instid0(VALU_DEP_1)
	v_cndmask_b32_e64 v26, v26, v55, s0
.LBB9_16:
	s_or_b32 exec_lo, exec_lo, s1
	v_add_nc_u64_e32 v[50:51], s[12:13], v[44:45]
	s_delay_alu instid0(VALU_DEP_2)
	v_dual_mul_f32 v28, v26, v14 :: v_dual_mov_b32 v29, 0
	v_dual_mul_f32 v37, v26, v15 :: v_dual_mul_f32 v44, v26, v16
	v_dual_mul_f32 v45, v26, v17 :: v_dual_mul_f32 v53, v26, v10
	global_load_b32 v27, v[50:51], off
	v_dual_mul_f32 v55, v26, v11 :: v_dual_mul_f32 v88, v26, v12
	v_dual_mul_f32 v89, v26, v13 :: v_dual_mul_f32 v90, v26, v6
	;; [unrolled: 1-line block ×7, first 2 shown]
	ds_load_b128 v[56:59], v29
	ds_load_b128 v[60:63], v29 offset:16
	ds_load_b128 v[64:67], v29 offset:32
	;; [unrolled: 1-line block ×3, first 2 shown]
	v_dual_mul_f32 v101, 0x3fb8aa3b, v53 :: v_dual_mul_f32 v102, 0x3fb8aa3b, v55
	ds_load_b128 v[72:75], v29 offset:64
	ds_load_b128 v[76:79], v29 offset:80
	v_dual_mul_f32 v104, 0x3fb8aa3b, v89 :: v_dual_mul_f32 v105, 0x3fb8aa3b, v90
	v_dual_mul_f32 v106, 0x3fb8aa3b, v91 :: v_dual_mul_f32 v107, 0x3fb8aa3b, v92
	v_mul_f32_e32 v110, 0x3fb8aa3b, v95
	ds_load_b128 v[80:83], v29 offset:96
	ds_load_b128 v[84:87], v29 offset:112
	v_mul_f32_e32 v29, 0x3fb8aa3b, v96
	v_fma_f32 v112, 0x3fb8aa3b, v28, -v52
	v_rndne_f32_e32 v113, v52
	v_dual_mul_f32 v108, 0x3fb8aa3b, v93 :: v_dual_mul_f32 v109, 0x3fb8aa3b, v94
	v_fma_f32 v114, 0x3fb8aa3b, v37, -v98
	v_rndne_f32_e32 v115, v98
	v_mul_f32_e32 v111, 0x3fb8aa3b, v97
	v_rndne_f32_e32 v117, v99
	v_rndne_f32_e32 v123, v102
	v_fma_f32 v128, 0x3fb8aa3b, v90, -v105
	v_rndne_f32_e32 v131, v106
	v_fma_f32 v140, 0x3fb8aa3b, v96, -v29
	v_rndne_f32_e32 v141, v29
	v_fmac_f32_e32 v112, 0x32a5705f, v28
	v_sub_f32_e32 v52, v52, v113
	v_dual_mul_f32 v100, 0x3fb8aa3b, v45 :: v_dual_mul_f32 v103, 0x3fb8aa3b, v88
	v_fma_f32 v116, 0x3fb8aa3b, v44, -v99
	v_fma_f32 v122, 0x3fb8aa3b, v55, -v102
	;; [unrolled: 1-line block ×3, first 2 shown]
	v_rndne_f32_e32 v135, v108
	v_fma_f32 v136, 0x3fb8aa3b, v94, -v109
	v_sub_f32_e32 v98, v98, v115
	v_rndne_f32_e32 v143, v111
	v_fmac_f32_e32 v114, 0x32a5705f, v37
	v_dual_sub_f32 v99, v99, v117 :: v_dual_sub_f32 v102, v102, v123
	v_dual_fmac_f32 v128, 0x32a5705f, v90 :: v_dual_sub_f32 v29, v29, v141
	v_dual_sub_f32 v106, v106, v131 :: v_dual_add_f32 v52, v52, v112
	v_fmac_f32_e32 v140, 0x32a5705f, v96
	v_fma_f32 v118, 0x3fb8aa3b, v45, -v100
	v_rndne_f32_e32 v119, v100
	v_rndne_f32_e32 v121, v101
	v_fma_f32 v134, 0x3fb8aa3b, v93, -v108
	v_fma_f32 v142, 0x3fb8aa3b, v97, -v111
	v_fmac_f32_e32 v116, 0x32a5705f, v44
	v_dual_fmac_f32 v136, 0x32a5705f, v94 :: v_dual_add_f32 v29, v29, v140
	v_sub_f32_e32 v111, v111, v143
	v_dual_sub_f32 v108, v108, v135 :: v_dual_add_f32 v98, v98, v114
	v_exp_f32_e32 v52, v52
	v_cvt_i32_f32_e32 v113, v113
	v_fma_f32 v120, 0x3fb8aa3b, v53, -v101
	v_fma_f32 v124, 0x3fb8aa3b, v88, -v103
	v_rndne_f32_e32 v125, v103
	v_rndne_f32_e32 v133, v107
	;; [unrolled: 1-line block ×3, first 2 shown]
	v_dual_sub_f32 v100, v100, v119 :: v_dual_sub_f32 v101, v101, v121
	v_dual_fmac_f32 v118, 0x32a5705f, v45 :: v_dual_add_f32 v99, v99, v116
	v_exp_f32_e32 v98, v98
	v_exp_f32_e32 v29, v29
	v_rndne_f32_e32 v129, v105
	v_fmac_f32_e32 v122, 0x32a5705f, v55
	v_cvt_i32_f32_e32 v115, v115
	v_cvt_i32_f32_e32 v141, v141
	v_ldexp_f32 v52, v52, v113
	v_cmp_ngt_f32_e64 s0, 0xc2ce8ed0, v28
	v_fma_f32 v126, 0x3fb8aa3b, v89, -v104
	v_fma_f32 v132, 0x3fb8aa3b, v92, -v107
	;; [unrolled: 1-line block ×3, first 2 shown]
	v_dual_fmac_f32 v124, 0x32a5705f, v88 :: v_dual_sub_f32 v107, v107, v133
	v_sub_f32_e32 v103, v103, v125
	v_fmac_f32_e32 v120, 0x32a5705f, v53
	v_dual_sub_f32 v110, v110, v139 :: v_dual_add_f32 v100, v100, v118
	v_exp_f32_e32 v99, v99
	v_rndne_f32_e32 v127, v104
	v_sub_f32_e32 v105, v105, v129
	v_cvt_i32_f32_e32 v117, v117
	v_add_f32_e32 v102, v102, v122
	v_ldexp_f32 v98, v98, v115
	v_ldexp_f32 v112, v29, v141
	v_cndmask_b32_e64 v29, 0, v52, s0
	v_cmp_ngt_f32_e64 s0, 0xc2ce8ed0, v37
	v_dual_add_f32 v103, v103, v124 :: v_dual_fmac_f32 v126, 0x32a5705f, v89
	v_add_f32_e32 v101, v101, v120
	v_exp_f32_e32 v100, v100
	v_rndne_f32_e32 v137, v109
	v_sub_f32_e32 v104, v104, v127
	v_cvt_i32_f32_e32 v119, v119
	v_ldexp_f32 v99, v99, v117
	v_cndmask_b32_e64 v98, 0, v98, s0
	v_cmp_ngt_f32_e64 s0, 0xc2ce8ed0, v44
	v_exp_f32_e32 v101, v101
	v_dual_fmac_f32 v130, 0x32a5705f, v91 :: v_dual_add_f32 v105, v105, v128
	v_cvt_i32_f32_e32 v121, v121
	v_sub_f32_e32 v109, v109, v137
	v_fmac_f32_e32 v142, 0x32a5705f, v97
	v_dual_add_f32 v104, v104, v126 :: v_dual_cndmask_b32 v99, 0, v99, s0
	v_ldexp_f32 v100, v100, v119
	v_cmp_ngt_f32_e64 s0, 0xc2ce8ed0, v45
	v_exp_f32_e32 v102, v102
	v_cvt_i32_f32_e32 v123, v123
	v_dual_fmac_f32 v132, 0x32a5705f, v92 :: v_dual_add_f32 v111, v111, v142
	v_fmac_f32_e32 v134, 0x32a5705f, v93
	v_dual_add_f32 v106, v106, v130 :: v_dual_cndmask_b32 v100, 0, v100, s0
	v_ldexp_f32 v101, v101, v121
	v_cmp_ngt_f32_e64 s0, 0xc2ce8ed0, v53
	v_exp_f32_e32 v103, v103
	v_exp_f32_e32 v105, v105
	v_cvt_i32_f32_e32 v125, v125
	v_cvt_i32_f32_e32 v129, v129
	v_dual_add_f32 v107, v107, v132 :: v_dual_add_f32 v108, v108, v134
	v_cndmask_b32_e64 v101, 0, v101, s0
	v_ldexp_f32 v102, v102, v123
	v_cmp_ngt_f32_e64 s0, 0xc2ce8ed0, v55
	v_exp_f32_e32 v104, v104
	v_cvt_i32_f32_e32 v127, v127
	v_dual_fmac_f32 v138, 0x32a5705f, v95 :: v_dual_add_f32 v109, v109, v136
	v_ldexp_f32 v103, v103, v125
	v_ldexp_f32 v105, v105, v129
	v_cndmask_b32_e64 v102, 0, v102, s0
	v_cmp_ngt_f32_e64 s0, 0xc2ce8ed0, v88
	v_add_f32_e32 v110, v110, v138
	v_ldexp_f32 v104, v104, v127
	v_exp_f32_e32 v106, v106
	v_cvt_i32_f32_e32 v131, v131
	v_cndmask_b32_e64 v103, 0, v103, s0
	v_cmp_ngt_f32_e64 s0, 0xc2ce8ed0, v89
	v_exp_f32_e32 v107, v107
	v_cvt_i32_f32_e32 v133, v133
	v_exp_f32_e32 v108, v108
	v_ldexp_f32 v106, v106, v131
	v_cndmask_b32_e64 v104, 0, v104, s0
	v_cmp_ngt_f32_e64 s0, 0xc2ce8ed0, v90
	v_cvt_i32_f32_e32 v135, v135
	v_ldexp_f32 v107, v107, v133
	v_exp_f32_e32 v109, v109
	v_cvt_i32_f32_e32 v137, v137
	v_cndmask_b32_e64 v105, 0, v105, s0
	v_cmp_ngt_f32_e64 s0, 0xc2ce8ed0, v91
	v_ldexp_f32 v108, v108, v135
	v_exp_f32_e32 v110, v110
	v_cvt_i32_f32_e32 v139, v139
	v_ldexp_f32 v109, v109, v137
	v_cndmask_b32_e64 v106, 0, v106, s0
	v_cmp_nlt_f32_e64 s0, 0x42b17218, v28
	v_exp_f32_e32 v111, v111
	v_cvt_i32_f32_e32 v143, v143
	v_ldexp_f32 v110, v110, v139
	s_delay_alu instid0(TRANS32_DEP_1) | instid1(VALU_DEP_2)
	v_ldexp_f32 v111, v111, v143
	s_wait_loadcnt 0x0
	v_mul_f32_e32 v52, v26, v27
	v_cndmask_b32_e64 v26, 0x7f800000, v29, s0
	v_cmp_nlt_f32_e64 s0, 0x42b17218, v37
	s_wait_dscnt 0x7
	s_delay_alu instid0(VALU_DEP_3) | instskip(NEXT) | instid1(VALU_DEP_2)
	v_pk_mul_f32 v[28:29], v[52:53], v[56:57] op_sel_hi:[0,1]
	v_cndmask_b32_e64 v27, 0x7f800000, v98, s0
	v_cmp_ngt_f32_e64 s0, 0xc2ce8ed0, v92
	s_delay_alu instid0(VALU_DEP_2) | instskip(NEXT) | instid1(VALU_DEP_2)
	v_pk_fma_f32 v[26:27], v[42:43], v[26:27], v[28:29]
	v_cndmask_b32_e64 v37, 0, v107, s0
	v_cmp_nlt_f32_e64 s0, 0x42b17218, v44
	v_pk_mul_f32 v[28:29], v[52:53], v[58:59] op_sel_hi:[0,1]
	s_delay_alu instid0(VALU_DEP_2) | instskip(SKIP_1) | instid1(VALU_DEP_1)
	v_cndmask_b32_e64 v44, 0x7f800000, v99, s0
	v_cmp_nlt_f32_e64 s0, 0x42b17218, v45
	v_cndmask_b32_e64 v45, 0x7f800000, v100, s0
	v_cmp_nlt_f32_e64 s0, 0x42b17218, v53
	s_wait_dscnt 0x3
	v_fma_f32 v53, v72, v26, 0
	s_delay_alu instid0(VALU_DEP_3) | instskip(NEXT) | instid1(VALU_DEP_3)
	v_pk_fma_f32 v[28:29], v[32:33], v[44:45], v[28:29]
	v_cndmask_b32_e64 v42, 0x7f800000, v101, s0
	v_cmp_nlt_f32_e64 s0, 0x42b17218, v55
	s_delay_alu instid0(VALU_DEP_4) | instskip(SKIP_1) | instid1(VALU_DEP_3)
	v_pk_mul_f32 v[56:57], v[52:53], v[60:61] op_sel_hi:[0,1]
	v_fmac_f32_e32 v53, v73, v27
	v_cndmask_b32_e64 v43, 0x7f800000, v102, s0
	v_cmp_ngt_f32_e64 s0, 0xc2ce8ed0, v93
	s_delay_alu instid0(VALU_DEP_3) | instskip(NEXT) | instid1(VALU_DEP_3)
	v_fmac_f32_e32 v53, v74, v28
	v_pk_fma_f32 v[30:31], v[30:31], v[42:43], v[56:57]
	s_delay_alu instid0(VALU_DEP_3) | instskip(SKIP_1) | instid1(VALU_DEP_4)
	v_cndmask_b32_e64 v55, 0, v108, s0
	v_cmp_nlt_f32_e64 s0, 0x42b17218, v88
	v_pk_mul_f32 v[42:43], v[52:53], v[62:63] op_sel_hi:[0,1]
	s_wait_dscnt 0x2
	v_pk_mul_f32 v[44:45], v[76:77], v[30:31]
	s_delay_alu instid0(VALU_DEP_3) | instskip(SKIP_1) | instid1(VALU_DEP_1)
	v_cndmask_b32_e64 v32, 0x7f800000, v103, s0
	v_cmp_nlt_f32_e64 s0, 0x42b17218, v89
	v_cndmask_b32_e64 v33, 0x7f800000, v104, s0
	v_cmp_ngt_f32_e64 s0, 0xc2ce8ed0, v94
	s_delay_alu instid0(VALU_DEP_2) | instskip(NEXT) | instid1(VALU_DEP_1)
	v_pk_fma_f32 v[32:33], v[46:47], v[32:33], v[42:43]
	v_pk_mul_f32 v[46:47], v[78:79], v[32:33]
	v_fmac_f32_e32 v53, v75, v29
	s_delay_alu instid0(VALU_DEP_4) | instskip(SKIP_1) | instid1(VALU_DEP_3)
	v_cndmask_b32_e64 v58, 0, v109, s0
	v_cmp_nlt_f32_e64 s0, 0x42b17218, v90
	v_add_f32_e32 v44, v53, v44
	v_pk_mul_f32 v[42:43], v[52:53], v[64:65] op_sel_hi:[0,1]
	s_delay_alu instid0(VALU_DEP_3) | instskip(SKIP_1) | instid1(VALU_DEP_1)
	v_cndmask_b32_e64 v56, 0x7f800000, v105, s0
	v_cmp_nlt_f32_e64 s0, 0x42b17218, v91
	v_cndmask_b32_e64 v57, 0x7f800000, v106, s0
	v_cmp_ngt_f32_e64 s0, 0xc2ce8ed0, v95
	v_add_f32_e32 v45, v44, v45
	s_delay_alu instid0(VALU_DEP_3) | instskip(NEXT) | instid1(VALU_DEP_3)
	v_pk_fma_f32 v[42:43], v[22:23], v[56:57], v[42:43]
	v_cndmask_b32_e64 v53, 0, v110, s0
	v_cmp_nlt_f32_e64 s0, 0x42b17218, v92
	s_wait_dscnt 0x1
	s_delay_alu instid0(VALU_DEP_3) | instskip(NEXT) | instid1(VALU_DEP_3)
	v_pk_mul_f32 v[56:57], v[80:81], v[42:43]
	v_pk_mul_f32 v[22:23], v[52:53], v[66:67] op_sel_hi:[0,1]
	s_delay_alu instid0(VALU_DEP_3) | instskip(SKIP_2) | instid1(VALU_DEP_2)
	v_cndmask_b32_e64 v44, 0x7f800000, v37, s0
	v_cmp_nlt_f32_e64 s0, 0x42b17218, v93
	v_add_f32_e32 v37, v45, v46
	v_cndmask_b32_e64 v45, 0x7f800000, v55, s0
	v_cmp_ngt_f32_e64 s0, 0xc2ce8ed0, v96
	s_delay_alu instid0(VALU_DEP_3) | instskip(NEXT) | instid1(VALU_DEP_3)
	v_add_f32_e32 v37, v37, v47
	v_pk_fma_f32 v[44:45], v[24:25], v[44:45], v[22:23]
	s_delay_alu instid0(VALU_DEP_3) | instskip(SKIP_2) | instid1(VALU_DEP_4)
	v_cndmask_b32_e64 v55, 0, v112, s0
	v_cmp_nlt_f32_e64 s0, 0x42b17218, v94
	v_pk_mul_f32 v[22:23], v[52:53], v[68:69] op_sel_hi:[0,1]
	v_pk_mul_f32 v[24:25], v[82:83], v[44:45]
	s_delay_alu instid0(VALU_DEP_3) | instskip(SKIP_1) | instid1(VALU_DEP_1)
	v_cndmask_b32_e64 v46, 0x7f800000, v58, s0
	v_cmp_nlt_f32_e64 s0, 0x42b17218, v95
	v_cndmask_b32_e64 v47, 0x7f800000, v53, s0
	v_cmp_ngt_f32_e64 s0, 0xc2ce8ed0, v97
	v_add_f32_e32 v37, v37, v56
	s_delay_alu instid0(VALU_DEP_3) | instskip(NEXT) | instid1(VALU_DEP_3)
	v_pk_fma_f32 v[18:19], v[18:19], v[46:47], v[22:23]
	v_cndmask_b32_e64 v53, 0, v111, s0
	v_cmp_nlt_f32_e64 s0, 0x42b17218, v96
	s_wait_dscnt 0x0
	s_delay_alu instid0(VALU_DEP_3) | instskip(SKIP_1) | instid1(VALU_DEP_3)
	v_pk_mul_f32 v[46:47], v[84:85], v[18:19]
	v_add_f32_e32 v37, v37, v57
	v_cndmask_b32_e64 v56, 0x7f800000, v55, s0
	v_cmp_nlt_f32_e64 s0, 0x42b17218, v97
	v_pk_mul_f32 v[22:23], v[52:53], v[70:71] op_sel_hi:[0,1]
	s_delay_alu instid0(VALU_DEP_2) | instskip(NEXT) | instid1(VALU_DEP_1)
	v_cndmask_b32_e64 v57, 0x7f800000, v53, s0
	v_pk_fma_f32 v[20:21], v[20:21], v[56:57], v[22:23]
	s_delay_alu instid0(VALU_DEP_1) | instskip(SKIP_1) | instid1(VALU_DEP_1)
	v_pk_mul_f32 v[22:23], v[86:87], v[20:21]
	v_add_f32_e32 v24, v37, v24
	v_add_f32_e32 v24, v24, v25
	s_delay_alu instid0(VALU_DEP_1) | instskip(NEXT) | instid1(VALU_DEP_1)
	v_add_f32_e32 v24, v24, v46
	v_add_f32_e32 v37, v24, v47
	v_mad_nc_i64_i32 v[24:25], s6, 12, v[0:1]
	s_delay_alu instid0(VALU_DEP_2) | instskip(NEXT) | instid1(VALU_DEP_1)
	v_add_f32_e32 v22, v37, v22
	v_add_f32_e32 v22, v22, v23
	global_store_b32 v[24:25], v22, off
	s_wait_storecnt 0x0
	s_barrier_signal -1
	s_barrier_wait -1
	s_wait_xcnt 0x0
	s_and_saveexec_b32 s0, vcc_lo
	s_cbranch_execz .LBB9_18
; %bb.17:
	v_lshl_add_u64 v[22:23], s[8:9], 4, v[40:41]
	v_lshl_add_u64 v[24:25], s[2:3], 4, v[38:39]
	global_load_b32 v37, v[22:23], off
	global_load_b32 v46, v[24:25], off
	s_wait_loadcnt 0x1
	ds_store_b32 v36, v37
	s_wait_loadcnt 0x0
	ds_store_b32 v54, v46
.LBB9_18:
	s_or_b32 exec_lo, exec_lo, s0
	v_add_nc_u64_e32 v[22:23], s[14:15], v[48:49]
	s_wait_dscnt 0x0
	s_barrier_signal -1
	s_barrier_wait -1
	s_mov_b32 s1, exec_lo
	global_load_b32 v37, v[22:23], off
	s_wait_loadcnt 0x0
	v_cmpx_ge_f32_e32 0x41a00000, v37
	s_cbranch_execz .LBB9_20
; %bb.19:
	v_mul_f32_e32 v24, 0x3fb8aa3b, v37
	v_cmp_ngt_f32_e64 s0, 0xc2ce8ed0, v37
	s_delay_alu instid0(VALU_DEP_2) | instskip(SKIP_1) | instid1(VALU_DEP_2)
	v_rndne_f32_e32 v25, v24
	v_fma_f32 v46, 0x3fb8aa3b, v37, -v24
	v_sub_f32_e32 v24, v24, v25
	s_delay_alu instid0(VALU_DEP_2) | instskip(SKIP_1) | instid1(VALU_DEP_2)
	v_fmamk_f32 v46, v37, 0x32a5705f, v46
	v_cvt_i32_f32_e32 v25, v25
	v_add_f32_e32 v24, v24, v46
	s_delay_alu instid0(VALU_DEP_1) | instskip(SKIP_1) | instid1(TRANS32_DEP_1)
	v_exp_f32_e32 v24, v24
	v_nop
	v_ldexp_f32 v24, v24, v25
	s_delay_alu instid0(VALU_DEP_1) | instskip(SKIP_1) | instid1(VALU_DEP_1)
	v_cndmask_b32_e64 v24, 0, v24, s0
	v_cmp_nlt_f32_e64 s0, 0x42b17218, v37
	v_cndmask_b32_e64 v55, 0x7f800000, v24, s0
	s_delay_alu instid0(VALU_DEP_1) | instskip(NEXT) | instid1(VALU_DEP_1)
	v_add_f32_e32 v37, 1.0, v55
	v_cvt_f64_f32_e32 v[24:25], v37
	s_delay_alu instid0(VALU_DEP_1) | instskip(SKIP_1) | instid1(VALU_DEP_1)
	v_frexp_exp_i32_f64_e32 v24, v[24:25]
	v_frexp_mant_f32_e32 v25, v37
	v_cmp_gt_f32_e64 s0, 0x3f2aaaab, v25
	s_delay_alu instid0(VALU_DEP_1) | instskip(SKIP_2) | instid1(VALU_DEP_1)
	v_subrev_co_ci_u32_e64 v52, null, 0, v24, s0
	v_add_f32_e32 v24, -1.0, v37
	s_mov_b32 s0, 0x3e9b6dac
	v_dual_sub_f32 v46, v24, v37 :: v_dual_sub_nc_u32 v25, 0, v52
	s_delay_alu instid0(VALU_DEP_1) | instskip(NEXT) | instid1(VALU_DEP_1)
	v_ldexp_f32 v37, v37, v25
	v_dual_add_f32 v47, 1.0, v37 :: v_dual_add_f32 v49, -1.0, v37
	s_delay_alu instid0(VALU_DEP_3) | instskip(NEXT) | instid1(VALU_DEP_1)
	v_dual_sub_f32 v24, v55, v24 :: v_dual_add_f32 v46, 1.0, v46
	v_dual_add_f32 v24, v24, v46 :: v_dual_add_f32 v46, -1.0, v47
	s_delay_alu instid0(VALU_DEP_1) | instskip(NEXT) | instid1(VALU_DEP_2)
	v_ldexp_f32 v24, v24, v25
	v_sub_f32_e32 v25, v37, v46
	s_delay_alu instid0(VALU_DEP_1) | instskip(SKIP_1) | instid1(VALU_DEP_1)
	v_add_f32_e32 v48, v24, v25
	v_add_f32_e32 v46, 1.0, v49
	v_dual_sub_f32 v25, v37, v46 :: v_dual_add_f32 v37, v47, v48
	s_delay_alu instid0(VALU_DEP_1) | instskip(NEXT) | instid1(VALU_DEP_1)
	v_rcp_f32_e32 v56, v37
	v_add_f32_e32 v53, v24, v25
	v_sub_f32_e32 v24, v47, v37
	s_delay_alu instid0(VALU_DEP_1)
	v_dual_add_f32 v25, v49, v53 :: v_dual_add_f32 v58, v48, v24
	s_delay_alu instid0(TRANS32_DEP_1) | instid1(VALU_DEP_1)
	v_mul_f32_e32 v57, v25, v56
	v_sub_f32_e32 v59, v49, v25
	s_delay_alu instid0(VALU_DEP_2) | instskip(NEXT) | instid1(VALU_DEP_1)
	v_mul_f32_e32 v46, v37, v57
	v_fma_f32 v48, v57, v37, -v46
	s_delay_alu instid0(VALU_DEP_1) | instskip(NEXT) | instid1(VALU_DEP_1)
	v_fmac_f32_e32 v48, v57, v58
	v_add_f32_e32 v24, v46, v48
	s_delay_alu instid0(VALU_DEP_1) | instskip(NEXT) | instid1(VALU_DEP_1)
	v_dual_sub_f32 v47, v25, v24 :: v_dual_mov_b32 v49, v24
	v_pk_add_f32 v[24:25], v[24:25], v[46:47] neg_lo:[0,1] neg_hi:[0,1]
	v_add_f32_e32 v46, v53, v59
	s_delay_alu instid0(VALU_DEP_2) | instskip(NEXT) | instid1(VALU_DEP_1)
	v_pk_add_f32 v[24:25], v[24:25], v[48:49] neg_lo:[0,1] neg_hi:[0,1]
	v_add_f32_e32 v25, v46, v25
	s_delay_alu instid0(VALU_DEP_1) | instskip(NEXT) | instid1(VALU_DEP_1)
	v_add_f32_e32 v53, v24, v25
	v_add_f32_e32 v25, v47, v53
	s_delay_alu instid0(VALU_DEP_1) | instskip(NEXT) | instid1(VALU_DEP_1)
	v_mul_f32_e32 v59, v56, v25
	v_mul_f32_e32 v48, v37, v59
	s_delay_alu instid0(VALU_DEP_1) | instskip(SKIP_1) | instid1(VALU_DEP_1)
	v_fma_f32 v46, v59, v37, -v48
	v_sub_f32_e32 v37, v47, v25
	v_dual_fmac_f32 v46, v59, v58 :: v_dual_add_f32 v37, v53, v37
	s_delay_alu instid0(VALU_DEP_1) | instskip(NEXT) | instid1(VALU_DEP_1)
	v_add_f32_e32 v24, v48, v46
	v_dual_sub_f32 v49, v25, v24 :: v_dual_mov_b32 v47, v24
	s_delay_alu instid0(VALU_DEP_1) | instskip(NEXT) | instid1(VALU_DEP_1)
	v_pk_add_f32 v[24:25], v[24:25], v[48:49] neg_lo:[0,1] neg_hi:[0,1]
	v_pk_add_f32 v[24:25], v[24:25], v[46:47] neg_lo:[0,1] neg_hi:[0,1]
	v_cvt_f32_i32_e32 v46, v52
	s_delay_alu instid0(VALU_DEP_2) | instskip(NEXT) | instid1(VALU_DEP_1)
	v_add_f32_e32 v25, v37, v25
	v_dual_add_f32 v37, v57, v59 :: v_dual_add_f32 v24, v24, v25
	s_delay_alu instid0(VALU_DEP_1) | instskip(NEXT) | instid1(VALU_DEP_1)
	v_sub_f32_e32 v25, v37, v57
	v_dual_add_f32 v24, v49, v24 :: v_dual_sub_f32 v25, v59, v25
	s_delay_alu instid0(VALU_DEP_1) | instskip(NEXT) | instid1(VALU_DEP_1)
	v_mul_f32_e32 v24, v56, v24
	v_dual_add_f32 v53, v25, v24 :: v_dual_mov_b32 v24, 0x3f317218
	s_delay_alu instid0(VALU_DEP_1) | instskip(NEXT) | instid1(VALU_DEP_1)
	v_add_f32_e32 v48, v37, v53
	v_mul_f32_e32 v25, v48, v48
	s_delay_alu instid0(VALU_DEP_1) | instskip(SKIP_2) | instid1(VALU_DEP_3)
	v_fmaak_f32 v49, s0, v25, 0x3ecc95a3
	v_mul_f32_e32 v47, v48, v25
	v_cmp_neq_f32_e64 s0, 0x7f800000, v55
	v_fmaak_f32 v25, v25, v49, 0x3f2aaada
	s_delay_alu instid0(VALU_DEP_1) | instskip(NEXT) | instid1(VALU_DEP_1)
	v_pk_mul_f32 v[24:25], v[46:47], v[24:25]
	v_fma_f32 v49, 0x3f317218, v46, -v24
	v_mov_b32_e32 v52, v24
	v_ldexp_f32 v47, v48, 1
	s_delay_alu instid0(VALU_DEP_3) | instskip(NEXT) | instid1(VALU_DEP_1)
	v_dual_sub_f32 v37, v48, v37 :: v_dual_fmamk_f32 v46, v46, 0xb102e308, v49
	v_pk_add_f32 v[48:49], v[24:25], v[46:47]
	s_delay_alu instid0(VALU_DEP_2) | instskip(NEXT) | instid1(VALU_DEP_2)
	v_sub_f32_e32 v37, v53, v37
	v_dual_sub_f32 v47, v49, v47 :: v_dual_mov_b32 v62, v49
	s_delay_alu instid0(VALU_DEP_2) | instskip(NEXT) | instid1(VALU_DEP_2)
	v_ldexp_f32 v37, v37, 1
	v_sub_f32_e32 v47, v25, v47
	v_pk_add_f32 v[24:25], v[48:49], v[24:25] neg_lo:[0,1] neg_hi:[0,1]
	s_delay_alu instid0(VALU_DEP_2) | instskip(NEXT) | instid1(VALU_DEP_1)
	v_dual_add_f32 v53, v37, v47 :: v_dual_mov_b32 v47, v48
	v_pk_add_f32 v[56:57], v[48:49], v[52:53]
	s_delay_alu instid0(VALU_DEP_1) | instskip(NEXT) | instid1(VALU_DEP_1)
	v_mov_b32_e32 v25, v57
	v_pk_add_f32 v[58:59], v[46:47], v[24:25]
	v_mov_b32_e32 v58, v57
	v_pk_add_f32 v[24:25], v[46:47], v[24:25] neg_lo:[0,1] neg_hi:[0,1]
	s_delay_alu instid0(VALU_DEP_3) | instskip(NEXT) | instid1(VALU_DEP_1)
	v_dual_mov_b32 v52, v59 :: v_dual_mov_b32 v25, v59
	v_pk_add_f32 v[60:61], v[52:53], v[48:49] neg_lo:[0,1] neg_hi:[0,1]
	v_dual_mov_b32 v49, v48 :: v_dual_mov_b32 v48, v53
	s_delay_alu instid0(VALU_DEP_2) | instskip(NEXT) | instid1(VALU_DEP_1)
	v_dual_mov_b32 v37, v60 :: v_dual_mov_b32 v63, v60
	v_pk_add_f32 v[46:47], v[56:57], v[36:37] neg_lo:[0,1] neg_hi:[0,1]
	s_delay_alu instid0(VALU_DEP_2) | instskip(SKIP_1) | instid1(VALU_DEP_2)
	v_pk_add_f32 v[60:61], v[58:59], v[62:63] neg_lo:[0,1] neg_hi:[0,1]
	v_mov_b32_e32 v46, v24
	v_pk_add_f32 v[48:49], v[48:49], v[60:61] neg_lo:[0,1] neg_hi:[0,1]
	s_delay_alu instid0(VALU_DEP_1) | instskip(NEXT) | instid1(VALU_DEP_1)
	v_pk_add_f32 v[46:47], v[46:47], v[48:49]
	v_mov_b32_e32 v56, v47
	s_delay_alu instid0(VALU_DEP_1) | instskip(NEXT) | instid1(VALU_DEP_1)
	v_pk_add_f32 v[56:57], v[46:47], v[56:57]
	v_pk_add_f32 v[52:53], v[52:53], v[56:57]
	s_delay_alu instid0(VALU_DEP_1) | instskip(NEXT) | instid1(VALU_DEP_1)
	v_dual_mov_b32 v49, v56 :: v_dual_mov_b32 v47, v52
	v_pk_add_f32 v[58:59], v[46:47], v[24:25] neg_lo:[0,1] neg_hi:[0,1]
	s_delay_alu instid0(VALU_DEP_1) | instskip(NEXT) | instid1(VALU_DEP_2)
	v_sub_f32_e32 v25, v46, v58
	v_pk_add_f32 v[46:47], v[48:49], v[58:59] neg_lo:[0,1] neg_hi:[0,1]
	s_delay_alu instid0(VALU_DEP_2) | instskip(NEXT) | instid1(VALU_DEP_1)
	v_sub_f32_e32 v24, v24, v25
	v_add_f32_e32 v24, v46, v24
	s_delay_alu instid0(VALU_DEP_1) | instskip(NEXT) | instid1(VALU_DEP_1)
	v_add_f32_e32 v24, v24, v47
	v_add_f32_e32 v24, v52, v24
	s_delay_alu instid0(VALU_DEP_1) | instskip(SKIP_1) | instid1(VALU_DEP_1)
	v_cndmask_b32_e64 v24, 0x7f800000, v24, s0
	v_cmp_gt_f32_e64 s0, 0x33800000, v55
	v_cndmask_b32_e64 v37, v24, v55, s0
.LBB9_20:
	s_or_b32 exec_lo, exec_lo, s1
	v_add_nc_u64_e32 v[24:25], s[12:13], v[50:51]
	s_delay_alu instid0(VALU_DEP_2)
	v_dual_mul_f32 v81, v37, v14 :: v_dual_mov_b32 v76, 0
	v_dual_mul_f32 v83, v37, v15 :: v_dual_mul_f32 v84, v37, v16
	v_dual_mul_f32 v85, v37, v17 :: v_dual_mul_f32 v86, v37, v10
	global_load_b32 v55, v[24:25], off
	v_dual_mul_f32 v87, v37, v11 :: v_dual_mul_f32 v88, v37, v12
	v_dual_mul_f32 v89, v37, v13 :: v_dual_mul_f32 v90, v37, v6
	;; [unrolled: 1-line block ×3, first 2 shown]
	s_delay_alu instid0(VALU_DEP_3) | instskip(SKIP_3) | instid1(VALU_DEP_3)
	v_dual_mul_f32 v80, 0x3fb8aa3b, v81 :: v_dual_mul_f32 v101, 0x3fb8aa3b, v87
	v_dual_mul_f32 v91, v37, v7 :: v_dual_mul_f32 v92, v37, v8
	;; [unrolled: 1-line block ×6, first 2 shown]
	v_fma_f32 v112, 0x3fb8aa3b, v81, -v80
	v_rndne_f32_e32 v113, v80
	v_dual_mul_f32 v95, v37, v3 :: v_dual_mul_f32 v96, v37, v4
	v_fma_f32 v114, 0x3fb8aa3b, v83, -v82
	v_rndne_f32_e32 v115, v82
	v_fma_f32 v118, 0x3fb8aa3b, v85, -v99
	v_rndne_f32_e32 v119, v99
	v_rndne_f32_e32 v123, v101
	;; [unrolled: 1-line block ×4, first 2 shown]
	v_fmac_f32_e32 v112, 0x32a5705f, v81
	v_dual_sub_f32 v80, v80, v113 :: v_dual_sub_f32 v82, v82, v115
	v_dual_mul_f32 v100, 0x3fb8aa3b, v86 :: v_dual_mul_f32 v103, 0x3fb8aa3b, v89
	v_dual_mul_f32 v108, 0x3fb8aa3b, v94 :: v_dual_mul_f32 v111, 0x3fb8aa3b, v97
	v_dual_mul_f32 v110, 0x3fb8aa3b, v96 :: v_dual_sub_f32 v99, v99, v119
	v_fma_f32 v116, 0x3fb8aa3b, v84, -v98
	v_rndne_f32_e32 v117, v98
	v_fma_f32 v122, 0x3fb8aa3b, v87, -v101
	v_fma_f32 v124, 0x3fb8aa3b, v88, -v102
	v_rndne_f32_e32 v129, v104
	v_fma_f32 v134, 0x3fb8aa3b, v93, -v107
	v_dual_fmac_f32 v118, 0x32a5705f, v85 :: v_dual_sub_f32 v107, v107, v135
	v_fmac_f32_e32 v114, 0x32a5705f, v83
	v_dual_sub_f32 v101, v101, v123 :: v_dual_sub_f32 v102, v102, v125
	v_add_f32_e32 v80, v80, v112
	v_rndne_f32_e32 v121, v100
	v_fma_f32 v142, 0x3fb8aa3b, v97, -v111
	v_rndne_f32_e32 v143, v111
	v_rndne_f32_e32 v127, v103
	v_fma_f32 v128, 0x3fb8aa3b, v90, -v104
	v_rndne_f32_e32 v131, v105
	v_rndne_f32_e32 v137, v108
	v_fmac_f32_e32 v116, 0x32a5705f, v84
	v_dual_sub_f32 v98, v98, v117 :: v_dual_add_f32 v99, v99, v118
	v_dual_sub_f32 v104, v104, v129 :: v_dual_add_f32 v82, v82, v114
	v_exp_f32_e32 v80, v80
	v_fma_f32 v120, 0x3fb8aa3b, v86, -v100
	v_fma_f32 v126, 0x3fb8aa3b, v89, -v103
	;; [unrolled: 1-line block ×3, first 2 shown]
	v_cvt_i32_f32_e32 v113, v113
	v_dual_sub_f32 v100, v100, v121 :: v_dual_sub_f32 v111, v111, v143
	v_fmac_f32_e32 v142, 0x32a5705f, v97
	v_fmac_f32_e32 v134, 0x32a5705f, v93
	v_dual_mul_f32 v106, 0x3fb8aa3b, v92 :: v_dual_mul_f32 v109, 0x3fb8aa3b, v95
	v_fma_f32 v136, 0x3fb8aa3b, v94, -v108
	v_sub_f32_e32 v103, v103, v127
	v_dual_sub_f32 v105, v105, v131 :: v_dual_sub_f32 v108, v108, v137
	v_add_f32_e32 v98, v98, v116
	v_exp_f32_e32 v82, v82
	v_exp_f32_e32 v99, v99
	v_cvt_i32_f32_e32 v115, v115
	v_cvt_i32_f32_e32 v119, v119
	v_dual_add_f32 v111, v111, v142 :: v_dual_fmac_f32 v130, 0x32a5705f, v91
	v_dual_add_f32 v107, v107, v134 :: v_dual_fmac_f32 v126, 0x32a5705f, v89
	v_ldexp_f32 v80, v80, v113
	v_cmp_ngt_f32_e64 s0, 0xc2ce8ed0, v81
	v_rndne_f32_e32 v133, v106
	v_rndne_f32_e32 v139, v109
	v_fmac_f32_e32 v120, 0x32a5705f, v86
	v_exp_f32_e32 v98, v98
	v_fma_f32 v132, 0x3fb8aa3b, v92, -v106
	v_fma_f32 v138, 0x3fb8aa3b, v95, -v109
	v_cvt_i32_f32_e32 v117, v117
	v_dual_add_f32 v105, v105, v130 :: v_dual_fmac_f32 v122, 0x32a5705f, v87
	v_dual_add_f32 v103, v103, v126 :: v_dual_fmac_f32 v124, 0x32a5705f, v88
	v_ldexp_f32 v82, v82, v115
	v_ldexp_f32 v99, v99, v119
	v_cndmask_b32_e64 v112, 0, v80, s0
	v_cmp_ngt_f32_e64 s0, 0xc2ce8ed0, v83
	v_dual_sub_f32 v109, v109, v139 :: v_dual_sub_f32 v106, v106, v133
	v_add_f32_e32 v100, v100, v120
	ds_load_b128 v[46:49], v76
	ds_load_b128 v[50:53], v76 offset:16
	ds_load_b128 v[56:59], v76 offset:32
	;; [unrolled: 1-line block ×5, first 2 shown]
	v_fmac_f32_e32 v138, 0x32a5705f, v95
	v_dual_fmac_f32 v132, 0x32a5705f, v92 :: v_dual_add_f32 v101, v101, v122
	v_dual_add_f32 v102, v102, v124 :: v_dual_cndmask_b32 v113, 0, v82, s0
	v_ldexp_f32 v98, v98, v117
	v_cmp_ngt_f32_e64 s0, 0xc2ce8ed0, v84
	v_exp_f32_e32 v100, v100
	v_cvt_i32_f32_e32 v121, v121
	v_dual_add_f32 v109, v109, v138 :: v_dual_add_f32 v106, v106, v132
	s_delay_alu instid0(VALU_DEP_3)
	v_cndmask_b32_e64 v98, 0, v98, s0
	v_cmp_ngt_f32_e64 s0, 0xc2ce8ed0, v85
	v_exp_f32_e32 v101, v101
	v_cvt_i32_f32_e32 v123, v123
	v_ldexp_f32 v100, v100, v121
	v_rndne_f32_e32 v141, v110
	v_cndmask_b32_e64 v99, 0, v99, s0
	v_cmp_ngt_f32_e64 s0, 0xc2ce8ed0, v86
	v_fmac_f32_e32 v128, 0x32a5705f, v90
	v_exp_f32_e32 v102, v102
	v_cvt_i32_f32_e32 v125, v125
	v_ldexp_f32 v101, v101, v123
	v_cndmask_b32_e64 v100, 0, v100, s0
	v_cmp_ngt_f32_e64 s0, 0xc2ce8ed0, v87
	v_fma_f32 v140, 0x3fb8aa3b, v96, -v110
	v_dual_sub_f32 v110, v110, v141 :: v_dual_add_f32 v104, v104, v128
	v_exp_f32_e32 v103, v103
	v_cvt_i32_f32_e32 v127, v127
	v_ldexp_f32 v102, v102, v125
	v_cndmask_b32_e64 v101, 0, v101, s0
	v_cmp_ngt_f32_e64 s0, 0xc2ce8ed0, v88
	v_exp_f32_e32 v104, v104
	v_cvt_i32_f32_e32 v129, v129
	v_ldexp_f32 v103, v103, v127
	v_exp_f32_e32 v105, v105
	v_cndmask_b32_e64 v102, 0, v102, s0
	v_cmp_ngt_f32_e64 s0, 0xc2ce8ed0, v89
	v_cvt_i32_f32_e32 v131, v131
	v_ldexp_f32 v104, v104, v129
	v_exp_f32_e32 v106, v106
	v_cvt_i32_f32_e32 v133, v133
	v_cndmask_b32_e64 v103, 0, v103, s0
	v_cmp_ngt_f32_e64 s0, 0xc2ce8ed0, v90
	v_ldexp_f32 v105, v105, v131
	v_exp_f32_e32 v107, v107
	v_cvt_i32_f32_e32 v135, v135
	v_ldexp_f32 v106, v106, v133
	v_cndmask_b32_e64 v104, 0, v104, s0
	v_cmp_ngt_f32_e64 s0, 0xc2ce8ed0, v91
	v_cvt_i32_f32_e32 v137, v137
	v_exp_f32_e32 v109, v109
	v_ldexp_f32 v107, v107, v135
	v_cvt_i32_f32_e32 v139, v139
	v_cndmask_b32_e64 v105, 0, v105, s0
	v_cmp_nlt_f32_e64 s0, 0x42b17218, v81
	ds_load_b128 v[72:75], v76 offset:96
	ds_load_b128 v[76:79], v76 offset:112
	v_cvt_i32_f32_e32 v141, v141
	v_ldexp_f32 v109, v109, v139
	v_exp_f32_e32 v111, v111
	v_cndmask_b32_e64 v82, 0x7f800000, v112, s0
	v_cmp_nlt_f32_e64 s0, 0x42b17218, v83
	v_cvt_i32_f32_e32 v143, v143
	s_delay_alu instid0(VALU_DEP_2)
	v_cndmask_b32_e64 v83, 0x7f800000, v113, s0
	v_cmp_ngt_f32_e64 s0, 0xc2ce8ed0, v92
	s_delay_alu instid0(TRANS32_DEP_1) | instid1(VALU_DEP_3)
	v_ldexp_f32 v111, v111, v143
	s_wait_loadcnt 0x0
	s_delay_alu instid0(VALU_DEP_2) | instskip(SKIP_2) | instid1(VALU_DEP_2)
	v_dual_mul_f32 v80, v37, v55 :: v_dual_cndmask_b32 v37, 0, v106, s0
	v_cmp_nlt_f32_e64 s0, 0x42b17218, v84
	s_wait_dscnt 0x7
	v_pk_mul_f32 v[46:47], v[80:81], v[46:47] op_sel_hi:[0,1]
	v_pk_mul_f32 v[48:49], v[80:81], v[48:49] op_sel_hi:[0,1]
	s_delay_alu instid0(VALU_DEP_3) | instskip(SKIP_4) | instid1(VALU_DEP_3)
	v_cndmask_b32_e64 v84, 0x7f800000, v98, s0
	v_cmp_nlt_f32_e64 s0, 0x42b17218, v85
	s_wait_dscnt 0x6
	v_pk_mul_f32 v[50:51], v[80:81], v[50:51] op_sel_hi:[0,1]
	v_pk_fma_f32 v[26:27], v[26:27], v[82:83], v[46:47]
	v_cndmask_b32_e64 v85, 0x7f800000, v99, s0
	v_cmp_nlt_f32_e64 s0, 0x42b17218, v86
	s_wait_dscnt 0x3
	s_delay_alu instid0(VALU_DEP_3) | instskip(NEXT) | instid1(VALU_DEP_3)
	v_fma_f32 v55, v64, v26, 0
	v_pk_fma_f32 v[28:29], v[28:29], v[84:85], v[48:49]
	s_delay_alu instid0(VALU_DEP_3) | instskip(SKIP_1) | instid1(VALU_DEP_4)
	v_cndmask_b32_e64 v46, 0x7f800000, v100, s0
	v_cmp_nlt_f32_e64 s0, 0x42b17218, v87
	v_dual_fmac_f32 v55, v65, v27 :: v_dual_fmac_f32 v136, 0x32a5705f, v94
	s_delay_alu instid0(VALU_DEP_2) | instskip(SKIP_1) | instid1(VALU_DEP_3)
	v_cndmask_b32_e64 v47, 0x7f800000, v101, s0
	v_cmp_ngt_f32_e64 s0, 0xc2ce8ed0, v93
	v_fmac_f32_e32 v55, v66, v28
	s_delay_alu instid0(VALU_DEP_4) | instskip(NEXT) | instid1(VALU_DEP_4)
	v_add_f32_e32 v108, v108, v136
	v_pk_fma_f32 v[30:31], v[30:31], v[46:47], v[50:51]
	s_delay_alu instid0(VALU_DEP_4) | instskip(SKIP_1) | instid1(VALU_DEP_4)
	v_cndmask_b32_e64 v64, 0, v107, s0
	v_cmp_nlt_f32_e64 s0, 0x42b17218, v88
	v_exp_f32_e32 v108, v108
	v_fmac_f32_e32 v55, v67, v29
	s_wait_dscnt 0x2
	v_pk_mul_f32 v[50:51], v[68:69], v[30:31]
	v_pk_mul_f32 v[46:47], v[80:81], v[52:53] op_sel_hi:[0,1]
	v_cndmask_b32_e64 v48, 0x7f800000, v102, s0
	v_cmp_nlt_f32_e64 s0, 0x42b17218, v89
	v_ldexp_f32 v108, v108, v137
	v_add_f32_e32 v50, v55, v50
	v_fmac_f32_e32 v140, 0x32a5705f, v96
	s_delay_alu instid0(VALU_DEP_4) | instskip(SKIP_1) | instid1(VALU_DEP_4)
	v_cndmask_b32_e64 v49, 0x7f800000, v103, s0
	v_cmp_ngt_f32_e64 s0, 0xc2ce8ed0, v94
	v_add_f32_e32 v51, v50, v51
	s_delay_alu instid0(VALU_DEP_3) | instskip(NEXT) | instid1(VALU_DEP_3)
	v_pk_fma_f32 v[32:33], v[32:33], v[48:49], v[46:47]
	v_cndmask_b32_e64 v65, 0, v108, s0
	v_cmp_nlt_f32_e64 s0, 0x42b17218, v90
	v_pk_mul_f32 v[46:47], v[80:81], v[56:57] op_sel_hi:[0,1]
	s_delay_alu instid0(VALU_DEP_4) | instskip(NEXT) | instid1(VALU_DEP_3)
	v_pk_mul_f32 v[48:49], v[70:71], v[32:33]
	v_cndmask_b32_e64 v52, 0x7f800000, v104, s0
	v_cmp_nlt_f32_e64 s0, 0x42b17218, v91
	s_delay_alu instid0(VALU_DEP_1) | instskip(SKIP_2) | instid1(VALU_DEP_3)
	v_cndmask_b32_e64 v53, 0x7f800000, v105, s0
	v_cmp_ngt_f32_e64 s0, 0xc2ce8ed0, v95
	v_add_f32_e32 v110, v110, v140
	v_pk_fma_f32 v[42:43], v[42:43], v[52:53], v[46:47]
	s_delay_alu instid0(VALU_DEP_3) | instskip(SKIP_1) | instid1(VALU_DEP_4)
	v_cndmask_b32_e64 v55, 0, v109, s0
	v_cmp_nlt_f32_e64 s0, 0x42b17218, v92
	v_exp_f32_e32 v110, v110
	v_pk_mul_f32 v[46:47], v[80:81], v[58:59] op_sel_hi:[0,1]
	s_wait_dscnt 0x1
	v_pk_mul_f32 v[52:53], v[72:73], v[42:43]
	v_cndmask_b32_e64 v50, 0x7f800000, v37, s0
	v_cmp_nlt_f32_e64 s0, 0x42b17218, v93
	v_add_f32_e32 v37, v51, v48
	v_ldexp_f32 v110, v110, v141
	s_delay_alu instid0(VALU_DEP_3) | instskip(SKIP_1) | instid1(VALU_DEP_4)
	v_cndmask_b32_e64 v51, 0x7f800000, v64, s0
	v_cmp_ngt_f32_e64 s0, 0xc2ce8ed0, v96
	v_add_f32_e32 v37, v37, v49
	s_delay_alu instid0(VALU_DEP_3) | instskip(NEXT) | instid1(VALU_DEP_3)
	v_pk_fma_f32 v[44:45], v[44:45], v[50:51], v[46:47]
	v_cndmask_b32_e64 v56, 0, v110, s0
	v_cmp_nlt_f32_e64 s0, 0x42b17218, v94
	v_pk_mul_f32 v[46:47], v[80:81], v[60:61] op_sel_hi:[0,1]
	s_delay_alu instid0(VALU_DEP_4) | instskip(NEXT) | instid1(VALU_DEP_3)
	v_pk_mul_f32 v[50:51], v[74:75], v[44:45]
	v_cndmask_b32_e64 v48, 0x7f800000, v65, s0
	v_cmp_nlt_f32_e64 s0, 0x42b17218, v95
	s_delay_alu instid0(VALU_DEP_1) | instskip(SKIP_2) | instid1(VALU_DEP_3)
	v_cndmask_b32_e64 v49, 0x7f800000, v55, s0
	v_cmp_ngt_f32_e64 s0, 0xc2ce8ed0, v97
	v_add_f32_e32 v37, v37, v52
	v_pk_fma_f32 v[18:19], v[18:19], v[48:49], v[46:47]
	v_pk_mul_f32 v[46:47], v[80:81], v[62:63] op_sel_hi:[0,1]
	s_delay_alu instid0(VALU_DEP_3) | instskip(SKIP_3) | instid1(VALU_DEP_3)
	v_dual_add_f32 v37, v37, v53 :: v_dual_cndmask_b32 v53, 0, v111, s0
	v_cmp_nlt_f32_e64 s0, 0x42b17218, v96
	s_wait_dscnt 0x0
	v_pk_mul_f32 v[48:49], v[76:77], v[18:19]
	v_add_f32_e32 v37, v37, v50
	s_delay_alu instid0(VALU_DEP_3) | instskip(SKIP_1) | instid1(VALU_DEP_3)
	v_cndmask_b32_e64 v52, 0x7f800000, v56, s0
	v_cmp_nlt_f32_e64 s0, 0x42b17218, v97
	v_add_f32_e32 v37, v37, v51
	s_delay_alu instid0(VALU_DEP_2) | instskip(SKIP_1) | instid1(VALU_DEP_2)
	v_cndmask_b32_e64 v53, 0x7f800000, v53, s0
	s_ashr_i64 s[0:1], s[16:17], 28
	v_add_f32_e32 v37, v37, v48
	s_delay_alu instid0(VALU_DEP_2) | instskip(NEXT) | instid1(VALU_DEP_2)
	v_pk_fma_f32 v[20:21], v[20:21], v[52:53], v[46:47]
	v_add_f32_e32 v37, v37, v49
	v_add_nc_u64_e32 v[48:49], s[0:1], v[0:1]
	s_delay_alu instid0(VALU_DEP_3) | instskip(NEXT) | instid1(VALU_DEP_1)
	v_pk_mul_f32 v[46:47], v[78:79], v[20:21]
	v_add_f32_e32 v37, v37, v46
	s_delay_alu instid0(VALU_DEP_1)
	v_add_f32_e32 v37, v37, v47
	global_store_b32 v[48:49], v37, off
	s_wait_storecnt 0x0
	s_barrier_signal -1
	s_barrier_wait -1
	s_wait_xcnt 0x0
	s_and_saveexec_b32 s0, vcc_lo
	s_cbranch_execz .LBB9_22
; %bb.21:
	v_mad_nc_i64_i32 v[46:47], s8, 20, v[40:41]
	v_mad_nc_i64_i32 v[48:49], s2, 20, v[38:39]
	global_load_b32 v37, v[46:47], off
	global_load_b32 v50, v[48:49], off
	s_wait_loadcnt 0x1
	ds_store_b32 v36, v37
	s_wait_loadcnt 0x0
	ds_store_b32 v54, v50
.LBB9_22:
	s_or_b32 exec_lo, exec_lo, s0
	v_add_nc_u64_e32 v[22:23], s[14:15], v[22:23]
	s_wait_dscnt 0x0
	s_barrier_signal -1
	s_barrier_wait -1
	s_mov_b32 s1, exec_lo
	global_load_b32 v37, v[22:23], off
	s_wait_loadcnt 0x0
	v_cmpx_ge_f32_e32 0x41a00000, v37
	s_cbranch_execz .LBB9_24
; %bb.23:
	v_mul_f32_e32 v46, 0x3fb8aa3b, v37
	v_cmp_ngt_f32_e64 s0, 0xc2ce8ed0, v37
	s_delay_alu instid0(VALU_DEP_2) | instskip(SKIP_1) | instid1(VALU_DEP_2)
	v_rndne_f32_e32 v47, v46
	v_fma_f32 v48, 0x3fb8aa3b, v37, -v46
	v_sub_f32_e32 v46, v46, v47
	s_delay_alu instid0(VALU_DEP_2) | instskip(SKIP_1) | instid1(VALU_DEP_2)
	v_fmamk_f32 v48, v37, 0x32a5705f, v48
	v_cvt_i32_f32_e32 v47, v47
	v_add_f32_e32 v46, v46, v48
	s_delay_alu instid0(VALU_DEP_1) | instskip(SKIP_1) | instid1(TRANS32_DEP_1)
	v_exp_f32_e32 v46, v46
	v_nop
	v_ldexp_f32 v46, v46, v47
	s_delay_alu instid0(VALU_DEP_1) | instskip(SKIP_1) | instid1(VALU_DEP_1)
	v_cndmask_b32_e64 v46, 0, v46, s0
	v_cmp_nlt_f32_e64 s0, 0x42b17218, v37
	v_cndmask_b32_e64 v55, 0x7f800000, v46, s0
	s_delay_alu instid0(VALU_DEP_1) | instskip(NEXT) | instid1(VALU_DEP_1)
	v_add_f32_e32 v37, 1.0, v55
	v_cvt_f64_f32_e32 v[46:47], v37
	s_delay_alu instid0(VALU_DEP_1) | instskip(SKIP_1) | instid1(VALU_DEP_1)
	v_frexp_exp_i32_f64_e32 v46, v[46:47]
	v_frexp_mant_f32_e32 v47, v37
	v_cmp_gt_f32_e64 s0, 0x3f2aaaab, v47
	s_delay_alu instid0(VALU_DEP_1) | instskip(SKIP_2) | instid1(VALU_DEP_1)
	v_subrev_co_ci_u32_e64 v52, null, 0, v46, s0
	v_add_f32_e32 v46, -1.0, v37
	s_mov_b32 s0, 0x3e9b6dac
	v_dual_sub_f32 v48, v46, v37 :: v_dual_sub_nc_u32 v47, 0, v52
	s_delay_alu instid0(VALU_DEP_1) | instskip(NEXT) | instid1(VALU_DEP_1)
	v_ldexp_f32 v37, v37, v47
	v_dual_add_f32 v49, 1.0, v37 :: v_dual_add_f32 v51, -1.0, v37
	s_delay_alu instid0(VALU_DEP_3) | instskip(NEXT) | instid1(VALU_DEP_1)
	v_dual_sub_f32 v46, v55, v46 :: v_dual_add_f32 v48, 1.0, v48
	v_dual_add_f32 v46, v46, v48 :: v_dual_add_f32 v48, -1.0, v49
	s_delay_alu instid0(VALU_DEP_1) | instskip(NEXT) | instid1(VALU_DEP_2)
	v_ldexp_f32 v46, v46, v47
	v_sub_f32_e32 v47, v37, v48
	s_delay_alu instid0(VALU_DEP_1) | instskip(NEXT) | instid1(VALU_DEP_1)
	v_add_f32_e32 v50, v46, v47
	v_dual_add_f32 v48, 1.0, v51 :: v_dual_add_f32 v53, v49, v50
	s_delay_alu instid0(VALU_DEP_1) | instskip(NEXT) | instid1(VALU_DEP_2)
	v_sub_f32_e32 v37, v37, v48
	v_rcp_f32_e32 v56, v53
	s_delay_alu instid0(VALU_DEP_1) | instskip(SKIP_1) | instid1(VALU_DEP_1)
	v_add_f32_e32 v37, v46, v37
	v_sub_f32_e32 v46, v49, v53
	v_dual_add_f32 v47, v51, v37 :: v_dual_add_f32 v58, v50, v46
	s_delay_alu instid0(TRANS32_DEP_1) | instid1(VALU_DEP_1)
	v_mul_f32_e32 v57, v47, v56
	s_delay_alu instid0(VALU_DEP_1) | instskip(NEXT) | instid1(VALU_DEP_1)
	v_dual_sub_f32 v59, v51, v47 :: v_dual_mul_f32 v48, v53, v57
	v_add_f32_e32 v37, v37, v59
	s_delay_alu instid0(VALU_DEP_2) | instskip(NEXT) | instid1(VALU_DEP_1)
	v_fma_f32 v50, v57, v53, -v48
	v_fmac_f32_e32 v50, v57, v58
	s_delay_alu instid0(VALU_DEP_1) | instskip(NEXT) | instid1(VALU_DEP_1)
	v_add_f32_e32 v46, v48, v50
	v_dual_sub_f32 v49, v47, v46 :: v_dual_mov_b32 v51, v46
	s_delay_alu instid0(VALU_DEP_1) | instskip(NEXT) | instid1(VALU_DEP_1)
	v_pk_add_f32 v[46:47], v[46:47], v[48:49] neg_lo:[0,1] neg_hi:[0,1]
	v_pk_add_f32 v[46:47], v[46:47], v[50:51] neg_lo:[0,1] neg_hi:[0,1]
	s_delay_alu instid0(VALU_DEP_1) | instskip(NEXT) | instid1(VALU_DEP_1)
	v_add_f32_e32 v37, v37, v47
	v_add_f32_e32 v37, v46, v37
	s_delay_alu instid0(VALU_DEP_1) | instskip(NEXT) | instid1(VALU_DEP_1)
	v_add_f32_e32 v47, v49, v37
	v_mul_f32_e32 v59, v56, v47
	s_delay_alu instid0(VALU_DEP_1) | instskip(NEXT) | instid1(VALU_DEP_1)
	v_mul_f32_e32 v50, v53, v59
	v_fma_f32 v48, v59, v53, -v50
	s_delay_alu instid0(VALU_DEP_1) | instskip(NEXT) | instid1(VALU_DEP_1)
	v_dual_fmac_f32 v48, v59, v58 :: v_dual_sub_f32 v53, v49, v47
	v_dual_add_f32 v46, v50, v48 :: v_dual_add_f32 v37, v37, v53
	s_delay_alu instid0(VALU_DEP_1) | instskip(NEXT) | instid1(VALU_DEP_1)
	v_dual_sub_f32 v51, v47, v46 :: v_dual_mov_b32 v49, v46
	v_pk_add_f32 v[46:47], v[46:47], v[50:51] neg_lo:[0,1] neg_hi:[0,1]
	s_delay_alu instid0(VALU_DEP_1) | instskip(SKIP_1) | instid1(VALU_DEP_2)
	v_pk_add_f32 v[46:47], v[46:47], v[48:49] neg_lo:[0,1] neg_hi:[0,1]
	v_cvt_f32_i32_e32 v48, v52
	v_add_f32_e32 v37, v37, v47
	s_delay_alu instid0(VALU_DEP_1) | instskip(NEXT) | instid1(VALU_DEP_1)
	v_dual_add_f32 v50, v57, v59 :: v_dual_add_f32 v37, v46, v37
	v_sub_f32_e32 v46, v50, v57
	s_delay_alu instid0(VALU_DEP_2) | instskip(NEXT) | instid1(VALU_DEP_1)
	v_add_f32_e32 v37, v51, v37
	v_dual_sub_f32 v46, v59, v46 :: v_dual_mul_f32 v37, v56, v37
	s_delay_alu instid0(VALU_DEP_1) | instskip(NEXT) | instid1(VALU_DEP_1)
	v_dual_add_f32 v37, v46, v37 :: v_dual_mov_b32 v46, 0x3f317218
	v_add_f32_e32 v51, v50, v37
	s_delay_alu instid0(VALU_DEP_1) | instskip(NEXT) | instid1(VALU_DEP_1)
	v_mul_f32_e32 v47, v51, v51
	v_fmaak_f32 v53, s0, v47, 0x3ecc95a3
	v_mul_f32_e32 v49, v51, v47
	v_cmp_neq_f32_e64 s0, 0x7f800000, v55
	s_delay_alu instid0(VALU_DEP_3) | instskip(NEXT) | instid1(VALU_DEP_1)
	v_fmaak_f32 v47, v47, v53, 0x3f2aaada
	v_pk_mul_f32 v[46:47], v[48:49], v[46:47]
	s_delay_alu instid0(VALU_DEP_1) | instskip(NEXT) | instid1(VALU_DEP_1)
	v_fma_f32 v52, 0x3f317218, v48, -v46
	v_fmamk_f32 v48, v48, 0xb102e308, v52
	v_ldexp_f32 v49, v51, 1
	v_sub_f32_e32 v52, v51, v50
	s_delay_alu instid0(VALU_DEP_2) | instskip(NEXT) | instid1(VALU_DEP_2)
	v_pk_add_f32 v[50:51], v[46:47], v[48:49]
	v_dual_sub_f32 v37, v37, v52 :: v_dual_mov_b32 v52, v46
	s_delay_alu instid0(VALU_DEP_2) | instskip(NEXT) | instid1(VALU_DEP_2)
	v_sub_f32_e32 v49, v51, v49
	v_ldexp_f32 v37, v37, 1
	v_mov_b32_e32 v62, v51
	s_delay_alu instid0(VALU_DEP_3) | instskip(SKIP_1) | instid1(VALU_DEP_2)
	v_sub_f32_e32 v49, v47, v49
	v_pk_add_f32 v[46:47], v[50:51], v[46:47] neg_lo:[0,1] neg_hi:[0,1]
	v_dual_add_f32 v53, v37, v49 :: v_dual_mov_b32 v49, v50
	s_delay_alu instid0(VALU_DEP_1) | instskip(NEXT) | instid1(VALU_DEP_1)
	v_pk_add_f32 v[56:57], v[50:51], v[52:53]
	v_mov_b32_e32 v47, v57
	s_delay_alu instid0(VALU_DEP_1) | instskip(SKIP_1) | instid1(VALU_DEP_2)
	v_pk_add_f32 v[58:59], v[48:49], v[46:47]
	v_pk_add_f32 v[46:47], v[48:49], v[46:47] neg_lo:[0,1] neg_hi:[0,1]
	v_dual_mov_b32 v52, v59 :: v_dual_mov_b32 v47, v59
	s_delay_alu instid0(VALU_DEP_1) | instskip(SKIP_1) | instid1(VALU_DEP_2)
	v_pk_add_f32 v[60:61], v[52:53], v[50:51] neg_lo:[0,1] neg_hi:[0,1]
	v_dual_mov_b32 v58, v57 :: v_dual_mov_b32 v51, v50
	v_dual_mov_b32 v50, v53 :: v_dual_mov_b32 v63, v60
	v_mov_b32_e32 v37, v60
	s_delay_alu instid0(VALU_DEP_2) | instskip(NEXT) | instid1(VALU_DEP_2)
	v_pk_add_f32 v[60:61], v[58:59], v[62:63] neg_lo:[0,1] neg_hi:[0,1]
	v_pk_add_f32 v[48:49], v[56:57], v[36:37] neg_lo:[0,1] neg_hi:[0,1]
	v_mov_b32_e32 v48, v46
	s_delay_alu instid0(VALU_DEP_3) | instskip(NEXT) | instid1(VALU_DEP_1)
	v_pk_add_f32 v[50:51], v[50:51], v[60:61] neg_lo:[0,1] neg_hi:[0,1]
	v_pk_add_f32 v[48:49], v[48:49], v[50:51]
	s_delay_alu instid0(VALU_DEP_1) | instskip(NEXT) | instid1(VALU_DEP_1)
	v_mov_b32_e32 v56, v49
	v_pk_add_f32 v[56:57], v[48:49], v[56:57]
	s_delay_alu instid0(VALU_DEP_1) | instskip(NEXT) | instid1(VALU_DEP_1)
	v_pk_add_f32 v[52:53], v[52:53], v[56:57]
	v_dual_mov_b32 v51, v56 :: v_dual_mov_b32 v49, v52
	s_delay_alu instid0(VALU_DEP_1) | instskip(NEXT) | instid1(VALU_DEP_1)
	v_pk_add_f32 v[58:59], v[48:49], v[46:47] neg_lo:[0,1] neg_hi:[0,1]
	v_sub_f32_e32 v37, v48, v58
	s_delay_alu instid0(VALU_DEP_2) | instskip(NEXT) | instid1(VALU_DEP_2)
	v_pk_add_f32 v[48:49], v[50:51], v[58:59] neg_lo:[0,1] neg_hi:[0,1]
	v_sub_f32_e32 v37, v46, v37
	s_delay_alu instid0(VALU_DEP_1) | instskip(NEXT) | instid1(VALU_DEP_1)
	v_add_f32_e32 v37, v48, v37
	v_add_f32_e32 v37, v37, v49
	s_delay_alu instid0(VALU_DEP_1) | instskip(NEXT) | instid1(VALU_DEP_1)
	v_add_f32_e32 v37, v52, v37
	v_cndmask_b32_e64 v37, 0x7f800000, v37, s0
	v_cmp_gt_f32_e64 s0, 0x33800000, v55
	s_delay_alu instid0(VALU_DEP_1)
	v_cndmask_b32_e64 v37, v37, v55, s0
.LBB9_24:
	s_or_b32 exec_lo, exec_lo, s1
	v_add_nc_u64_e32 v[24:25], s[12:13], v[24:25]
	s_delay_alu instid0(VALU_DEP_2)
	v_dual_mul_f32 v81, v37, v14 :: v_dual_mov_b32 v76, 0
	v_dual_mul_f32 v83, v37, v15 :: v_dual_mul_f32 v84, v37, v16
	v_dual_mul_f32 v85, v37, v17 :: v_dual_mul_f32 v86, v37, v10
	global_load_b32 v55, v[24:25], off
	v_dual_mul_f32 v87, v37, v11 :: v_dual_mul_f32 v88, v37, v12
	v_dual_mul_f32 v89, v37, v13 :: v_dual_mul_f32 v90, v37, v6
	;; [unrolled: 1-line block ×3, first 2 shown]
	s_delay_alu instid0(VALU_DEP_3) | instskip(SKIP_3) | instid1(VALU_DEP_3)
	v_dual_mul_f32 v80, 0x3fb8aa3b, v81 :: v_dual_mul_f32 v101, 0x3fb8aa3b, v87
	v_dual_mul_f32 v91, v37, v7 :: v_dual_mul_f32 v92, v37, v8
	;; [unrolled: 1-line block ×6, first 2 shown]
	v_fma_f32 v112, 0x3fb8aa3b, v81, -v80
	v_rndne_f32_e32 v113, v80
	v_dual_mul_f32 v95, v37, v3 :: v_dual_mul_f32 v96, v37, v4
	v_fma_f32 v114, 0x3fb8aa3b, v83, -v82
	v_rndne_f32_e32 v115, v82
	v_fma_f32 v118, 0x3fb8aa3b, v85, -v99
	v_rndne_f32_e32 v119, v99
	v_rndne_f32_e32 v123, v101
	;; [unrolled: 1-line block ×4, first 2 shown]
	v_fmac_f32_e32 v112, 0x32a5705f, v81
	v_dual_sub_f32 v80, v80, v113 :: v_dual_sub_f32 v82, v82, v115
	v_dual_mul_f32 v100, 0x3fb8aa3b, v86 :: v_dual_mul_f32 v103, 0x3fb8aa3b, v89
	v_dual_mul_f32 v108, 0x3fb8aa3b, v94 :: v_dual_mul_f32 v111, 0x3fb8aa3b, v97
	v_dual_mul_f32 v110, 0x3fb8aa3b, v96 :: v_dual_sub_f32 v99, v99, v119
	v_fma_f32 v116, 0x3fb8aa3b, v84, -v98
	v_rndne_f32_e32 v117, v98
	v_fma_f32 v122, 0x3fb8aa3b, v87, -v101
	v_fma_f32 v124, 0x3fb8aa3b, v88, -v102
	v_rndne_f32_e32 v129, v104
	v_fma_f32 v134, 0x3fb8aa3b, v93, -v107
	v_dual_fmac_f32 v118, 0x32a5705f, v85 :: v_dual_sub_f32 v107, v107, v135
	v_fmac_f32_e32 v114, 0x32a5705f, v83
	v_dual_sub_f32 v101, v101, v123 :: v_dual_sub_f32 v102, v102, v125
	v_add_f32_e32 v80, v80, v112
	v_rndne_f32_e32 v121, v100
	v_fma_f32 v142, 0x3fb8aa3b, v97, -v111
	v_rndne_f32_e32 v143, v111
	v_rndne_f32_e32 v127, v103
	v_fma_f32 v128, 0x3fb8aa3b, v90, -v104
	v_rndne_f32_e32 v131, v105
	v_rndne_f32_e32 v137, v108
	v_fmac_f32_e32 v116, 0x32a5705f, v84
	v_dual_sub_f32 v98, v98, v117 :: v_dual_add_f32 v99, v99, v118
	v_dual_sub_f32 v104, v104, v129 :: v_dual_add_f32 v82, v82, v114
	v_exp_f32_e32 v80, v80
	v_fma_f32 v120, 0x3fb8aa3b, v86, -v100
	v_fma_f32 v126, 0x3fb8aa3b, v89, -v103
	;; [unrolled: 1-line block ×3, first 2 shown]
	v_cvt_i32_f32_e32 v113, v113
	v_dual_sub_f32 v100, v100, v121 :: v_dual_sub_f32 v111, v111, v143
	v_fmac_f32_e32 v142, 0x32a5705f, v97
	v_fmac_f32_e32 v134, 0x32a5705f, v93
	v_dual_mul_f32 v106, 0x3fb8aa3b, v92 :: v_dual_mul_f32 v109, 0x3fb8aa3b, v95
	v_fma_f32 v136, 0x3fb8aa3b, v94, -v108
	v_sub_f32_e32 v103, v103, v127
	v_dual_sub_f32 v105, v105, v131 :: v_dual_sub_f32 v108, v108, v137
	v_add_f32_e32 v98, v98, v116
	v_exp_f32_e32 v82, v82
	v_exp_f32_e32 v99, v99
	v_cvt_i32_f32_e32 v115, v115
	v_cvt_i32_f32_e32 v119, v119
	v_dual_add_f32 v111, v111, v142 :: v_dual_fmac_f32 v130, 0x32a5705f, v91
	v_dual_add_f32 v107, v107, v134 :: v_dual_fmac_f32 v126, 0x32a5705f, v89
	v_ldexp_f32 v80, v80, v113
	v_cmp_ngt_f32_e64 s0, 0xc2ce8ed0, v81
	v_rndne_f32_e32 v133, v106
	v_rndne_f32_e32 v139, v109
	v_fmac_f32_e32 v120, 0x32a5705f, v86
	v_exp_f32_e32 v98, v98
	v_fma_f32 v132, 0x3fb8aa3b, v92, -v106
	v_fma_f32 v138, 0x3fb8aa3b, v95, -v109
	v_cvt_i32_f32_e32 v117, v117
	v_dual_add_f32 v105, v105, v130 :: v_dual_fmac_f32 v122, 0x32a5705f, v87
	v_dual_add_f32 v103, v103, v126 :: v_dual_fmac_f32 v124, 0x32a5705f, v88
	v_ldexp_f32 v82, v82, v115
	v_ldexp_f32 v99, v99, v119
	v_cndmask_b32_e64 v112, 0, v80, s0
	v_cmp_ngt_f32_e64 s0, 0xc2ce8ed0, v83
	v_dual_sub_f32 v109, v109, v139 :: v_dual_sub_f32 v106, v106, v133
	v_add_f32_e32 v100, v100, v120
	ds_load_b128 v[46:49], v76
	ds_load_b128 v[50:53], v76 offset:16
	ds_load_b128 v[56:59], v76 offset:32
	;; [unrolled: 1-line block ×5, first 2 shown]
	v_fmac_f32_e32 v138, 0x32a5705f, v95
	v_dual_fmac_f32 v132, 0x32a5705f, v92 :: v_dual_add_f32 v101, v101, v122
	v_dual_add_f32 v102, v102, v124 :: v_dual_cndmask_b32 v113, 0, v82, s0
	v_ldexp_f32 v98, v98, v117
	v_cmp_ngt_f32_e64 s0, 0xc2ce8ed0, v84
	v_exp_f32_e32 v100, v100
	v_cvt_i32_f32_e32 v121, v121
	v_dual_add_f32 v109, v109, v138 :: v_dual_add_f32 v106, v106, v132
	s_delay_alu instid0(VALU_DEP_3)
	v_cndmask_b32_e64 v98, 0, v98, s0
	v_cmp_ngt_f32_e64 s0, 0xc2ce8ed0, v85
	v_exp_f32_e32 v101, v101
	v_cvt_i32_f32_e32 v123, v123
	v_ldexp_f32 v100, v100, v121
	v_rndne_f32_e32 v141, v110
	v_cndmask_b32_e64 v99, 0, v99, s0
	v_cmp_ngt_f32_e64 s0, 0xc2ce8ed0, v86
	v_fmac_f32_e32 v128, 0x32a5705f, v90
	v_exp_f32_e32 v102, v102
	v_cvt_i32_f32_e32 v125, v125
	v_ldexp_f32 v101, v101, v123
	v_cndmask_b32_e64 v100, 0, v100, s0
	v_cmp_ngt_f32_e64 s0, 0xc2ce8ed0, v87
	v_fma_f32 v140, 0x3fb8aa3b, v96, -v110
	v_dual_sub_f32 v110, v110, v141 :: v_dual_add_f32 v104, v104, v128
	v_exp_f32_e32 v103, v103
	v_cvt_i32_f32_e32 v127, v127
	v_ldexp_f32 v102, v102, v125
	v_cndmask_b32_e64 v101, 0, v101, s0
	v_cmp_ngt_f32_e64 s0, 0xc2ce8ed0, v88
	v_exp_f32_e32 v104, v104
	v_cvt_i32_f32_e32 v129, v129
	v_ldexp_f32 v103, v103, v127
	v_exp_f32_e32 v105, v105
	v_cndmask_b32_e64 v102, 0, v102, s0
	v_cmp_ngt_f32_e64 s0, 0xc2ce8ed0, v89
	v_cvt_i32_f32_e32 v131, v131
	v_ldexp_f32 v104, v104, v129
	v_exp_f32_e32 v106, v106
	v_cvt_i32_f32_e32 v133, v133
	v_cndmask_b32_e64 v103, 0, v103, s0
	v_cmp_ngt_f32_e64 s0, 0xc2ce8ed0, v90
	v_ldexp_f32 v105, v105, v131
	v_exp_f32_e32 v107, v107
	v_cvt_i32_f32_e32 v135, v135
	v_ldexp_f32 v106, v106, v133
	v_cndmask_b32_e64 v104, 0, v104, s0
	v_cmp_ngt_f32_e64 s0, 0xc2ce8ed0, v91
	v_cvt_i32_f32_e32 v137, v137
	v_exp_f32_e32 v109, v109
	v_ldexp_f32 v107, v107, v135
	v_cvt_i32_f32_e32 v139, v139
	v_cndmask_b32_e64 v105, 0, v105, s0
	v_cmp_nlt_f32_e64 s0, 0x42b17218, v81
	ds_load_b128 v[72:75], v76 offset:96
	ds_load_b128 v[76:79], v76 offset:112
	v_cvt_i32_f32_e32 v141, v141
	v_ldexp_f32 v109, v109, v139
	v_exp_f32_e32 v111, v111
	v_cndmask_b32_e64 v82, 0x7f800000, v112, s0
	v_cmp_nlt_f32_e64 s0, 0x42b17218, v83
	v_cvt_i32_f32_e32 v143, v143
	s_delay_alu instid0(VALU_DEP_2)
	v_cndmask_b32_e64 v83, 0x7f800000, v113, s0
	v_cmp_ngt_f32_e64 s0, 0xc2ce8ed0, v92
	s_delay_alu instid0(TRANS32_DEP_1) | instid1(VALU_DEP_3)
	v_ldexp_f32 v111, v111, v143
	s_wait_loadcnt 0x0
	s_delay_alu instid0(VALU_DEP_2) | instskip(SKIP_2) | instid1(VALU_DEP_2)
	v_dual_mul_f32 v80, v37, v55 :: v_dual_cndmask_b32 v37, 0, v106, s0
	v_cmp_nlt_f32_e64 s0, 0x42b17218, v84
	s_wait_dscnt 0x7
	v_pk_mul_f32 v[46:47], v[80:81], v[46:47] op_sel_hi:[0,1]
	v_pk_mul_f32 v[48:49], v[80:81], v[48:49] op_sel_hi:[0,1]
	s_delay_alu instid0(VALU_DEP_3) | instskip(SKIP_4) | instid1(VALU_DEP_3)
	v_cndmask_b32_e64 v84, 0x7f800000, v98, s0
	v_cmp_nlt_f32_e64 s0, 0x42b17218, v85
	s_wait_dscnt 0x6
	v_pk_mul_f32 v[50:51], v[80:81], v[50:51] op_sel_hi:[0,1]
	v_pk_fma_f32 v[26:27], v[26:27], v[82:83], v[46:47]
	v_cndmask_b32_e64 v85, 0x7f800000, v99, s0
	v_cmp_nlt_f32_e64 s0, 0x42b17218, v86
	s_wait_dscnt 0x3
	s_delay_alu instid0(VALU_DEP_3) | instskip(NEXT) | instid1(VALU_DEP_3)
	v_fma_f32 v55, v64, v26, 0
	v_pk_fma_f32 v[28:29], v[28:29], v[84:85], v[48:49]
	s_delay_alu instid0(VALU_DEP_3) | instskip(SKIP_1) | instid1(VALU_DEP_4)
	v_cndmask_b32_e64 v46, 0x7f800000, v100, s0
	v_cmp_nlt_f32_e64 s0, 0x42b17218, v87
	v_dual_fmac_f32 v55, v65, v27 :: v_dual_fmac_f32 v136, 0x32a5705f, v94
	s_delay_alu instid0(VALU_DEP_2) | instskip(SKIP_1) | instid1(VALU_DEP_3)
	v_cndmask_b32_e64 v47, 0x7f800000, v101, s0
	v_cmp_ngt_f32_e64 s0, 0xc2ce8ed0, v93
	v_fmac_f32_e32 v55, v66, v28
	s_delay_alu instid0(VALU_DEP_4) | instskip(NEXT) | instid1(VALU_DEP_4)
	v_add_f32_e32 v108, v108, v136
	v_pk_fma_f32 v[30:31], v[30:31], v[46:47], v[50:51]
	s_delay_alu instid0(VALU_DEP_4) | instskip(SKIP_1) | instid1(VALU_DEP_4)
	v_cndmask_b32_e64 v64, 0, v107, s0
	v_cmp_nlt_f32_e64 s0, 0x42b17218, v88
	v_exp_f32_e32 v108, v108
	v_fmac_f32_e32 v55, v67, v29
	s_wait_dscnt 0x2
	v_pk_mul_f32 v[50:51], v[68:69], v[30:31]
	v_pk_mul_f32 v[46:47], v[80:81], v[52:53] op_sel_hi:[0,1]
	v_cndmask_b32_e64 v48, 0x7f800000, v102, s0
	v_cmp_nlt_f32_e64 s0, 0x42b17218, v89
	v_ldexp_f32 v108, v108, v137
	v_add_f32_e32 v50, v55, v50
	v_fmac_f32_e32 v140, 0x32a5705f, v96
	s_delay_alu instid0(VALU_DEP_4) | instskip(SKIP_1) | instid1(VALU_DEP_4)
	v_cndmask_b32_e64 v49, 0x7f800000, v103, s0
	v_cmp_ngt_f32_e64 s0, 0xc2ce8ed0, v94
	v_add_f32_e32 v51, v50, v51
	s_delay_alu instid0(VALU_DEP_3) | instskip(NEXT) | instid1(VALU_DEP_3)
	v_pk_fma_f32 v[32:33], v[32:33], v[48:49], v[46:47]
	v_cndmask_b32_e64 v65, 0, v108, s0
	v_cmp_nlt_f32_e64 s0, 0x42b17218, v90
	v_pk_mul_f32 v[46:47], v[80:81], v[56:57] op_sel_hi:[0,1]
	s_delay_alu instid0(VALU_DEP_4) | instskip(NEXT) | instid1(VALU_DEP_3)
	v_pk_mul_f32 v[48:49], v[70:71], v[32:33]
	v_cndmask_b32_e64 v52, 0x7f800000, v104, s0
	v_cmp_nlt_f32_e64 s0, 0x42b17218, v91
	s_delay_alu instid0(VALU_DEP_1) | instskip(SKIP_2) | instid1(VALU_DEP_3)
	v_cndmask_b32_e64 v53, 0x7f800000, v105, s0
	v_cmp_ngt_f32_e64 s0, 0xc2ce8ed0, v95
	v_add_f32_e32 v110, v110, v140
	v_pk_fma_f32 v[42:43], v[42:43], v[52:53], v[46:47]
	s_delay_alu instid0(VALU_DEP_3) | instskip(SKIP_1) | instid1(VALU_DEP_4)
	v_cndmask_b32_e64 v55, 0, v109, s0
	v_cmp_nlt_f32_e64 s0, 0x42b17218, v92
	v_exp_f32_e32 v110, v110
	v_pk_mul_f32 v[46:47], v[80:81], v[58:59] op_sel_hi:[0,1]
	s_wait_dscnt 0x1
	v_pk_mul_f32 v[52:53], v[72:73], v[42:43]
	v_cndmask_b32_e64 v50, 0x7f800000, v37, s0
	v_cmp_nlt_f32_e64 s0, 0x42b17218, v93
	v_add_f32_e32 v37, v51, v48
	v_ldexp_f32 v110, v110, v141
	s_delay_alu instid0(VALU_DEP_3) | instskip(SKIP_1) | instid1(VALU_DEP_4)
	v_cndmask_b32_e64 v51, 0x7f800000, v64, s0
	v_cmp_ngt_f32_e64 s0, 0xc2ce8ed0, v96
	v_add_f32_e32 v37, v37, v49
	s_delay_alu instid0(VALU_DEP_3) | instskip(NEXT) | instid1(VALU_DEP_3)
	v_pk_fma_f32 v[44:45], v[44:45], v[50:51], v[46:47]
	v_cndmask_b32_e64 v56, 0, v110, s0
	v_cmp_nlt_f32_e64 s0, 0x42b17218, v94
	v_pk_mul_f32 v[46:47], v[80:81], v[60:61] op_sel_hi:[0,1]
	s_delay_alu instid0(VALU_DEP_4) | instskip(NEXT) | instid1(VALU_DEP_3)
	v_pk_mul_f32 v[50:51], v[74:75], v[44:45]
	v_cndmask_b32_e64 v48, 0x7f800000, v65, s0
	v_cmp_nlt_f32_e64 s0, 0x42b17218, v95
	s_delay_alu instid0(VALU_DEP_1) | instskip(SKIP_2) | instid1(VALU_DEP_3)
	v_cndmask_b32_e64 v49, 0x7f800000, v55, s0
	v_cmp_ngt_f32_e64 s0, 0xc2ce8ed0, v97
	v_add_f32_e32 v37, v37, v52
	v_pk_fma_f32 v[46:47], v[18:19], v[48:49], v[46:47]
	v_pk_mul_f32 v[18:19], v[80:81], v[62:63] op_sel_hi:[0,1]
	s_delay_alu instid0(VALU_DEP_3) | instskip(SKIP_3) | instid1(VALU_DEP_3)
	v_dual_add_f32 v37, v37, v53 :: v_dual_cndmask_b32 v53, 0, v111, s0
	v_cmp_nlt_f32_e64 s0, 0x42b17218, v96
	s_wait_dscnt 0x0
	v_pk_mul_f32 v[48:49], v[76:77], v[46:47]
	v_add_f32_e32 v37, v37, v50
	s_delay_alu instid0(VALU_DEP_3) | instskip(SKIP_1) | instid1(VALU_DEP_3)
	v_cndmask_b32_e64 v52, 0x7f800000, v56, s0
	v_cmp_nlt_f32_e64 s0, 0x42b17218, v97
	v_add_f32_e32 v37, v37, v51
	s_delay_alu instid0(VALU_DEP_2) | instskip(NEXT) | instid1(VALU_DEP_1)
	v_cndmask_b32_e64 v53, 0x7f800000, v53, s0
	v_pk_fma_f32 v[20:21], v[20:21], v[52:53], v[18:19]
	s_delay_alu instid0(VALU_DEP_1) | instskip(NEXT) | instid1(VALU_DEP_4)
	v_pk_mul_f32 v[50:51], v[78:79], v[20:21]
	v_add_f32_e32 v18, v37, v48
	s_delay_alu instid0(VALU_DEP_1) | instskip(SKIP_1) | instid1(VALU_DEP_2)
	v_add_f32_e32 v37, v18, v49
	v_mad_nc_i64_i32 v[18:19], s6, 20, v[0:1]
	v_add_f32_e32 v0, v37, v50
	s_delay_alu instid0(VALU_DEP_1)
	v_add_f32_e32 v0, v0, v51
	global_store_b32 v[18:19], v0, off
	s_wait_storecnt 0x0
	s_barrier_signal -1
	s_barrier_wait -1
	s_wait_xcnt 0x0
	s_and_saveexec_b32 s0, vcc_lo
	s_cbranch_execz .LBB9_26
; %bb.25:
	v_mad_nc_i64_i32 v[0:1], s8, 24, v[40:41]
	v_mad_nc_i64_i32 v[48:49], s2, 24, v[38:39]
	global_load_b32 v37, v[0:1], off
	global_load_b32 v50, v[48:49], off
	s_wait_loadcnt 0x1
	ds_store_b32 v36, v37
	s_wait_loadcnt 0x0
	ds_store_b32 v54, v50
.LBB9_26:
	s_or_b32 exec_lo, exec_lo, s0
	v_add_nc_u64_e32 v[22:23], s[14:15], v[22:23]
	s_wait_dscnt 0x0
	s_barrier_signal -1
	s_barrier_wait -1
	s_mov_b32 s1, exec_lo
	global_load_b32 v37, v[22:23], off
	s_wait_loadcnt 0x0
	v_cmpx_ge_f32_e32 0x41a00000, v37
	s_cbranch_execz .LBB9_28
; %bb.27:
	v_mul_f32_e32 v0, 0x3fb8aa3b, v37
	v_cmp_ngt_f32_e64 s0, 0xc2ce8ed0, v37
	s_delay_alu instid0(VALU_DEP_2) | instskip(SKIP_1) | instid1(VALU_DEP_2)
	v_rndne_f32_e32 v1, v0
	v_fma_f32 v48, 0x3fb8aa3b, v37, -v0
	v_sub_f32_e32 v0, v0, v1
	s_delay_alu instid0(VALU_DEP_2) | instskip(SKIP_1) | instid1(VALU_DEP_2)
	v_fmamk_f32 v48, v37, 0x32a5705f, v48
	v_cvt_i32_f32_e32 v1, v1
	v_add_f32_e32 v0, v0, v48
	s_delay_alu instid0(VALU_DEP_1) | instskip(SKIP_1) | instid1(TRANS32_DEP_1)
	v_exp_f32_e32 v0, v0
	v_nop
	v_ldexp_f32 v0, v0, v1
	s_delay_alu instid0(VALU_DEP_1) | instskip(SKIP_1) | instid1(VALU_DEP_1)
	v_cndmask_b32_e64 v0, 0, v0, s0
	v_cmp_nlt_f32_e64 s0, 0x42b17218, v37
	v_cndmask_b32_e64 v55, 0x7f800000, v0, s0
	s_delay_alu instid0(VALU_DEP_1) | instskip(NEXT) | instid1(VALU_DEP_1)
	v_add_f32_e32 v37, 1.0, v55
	v_cvt_f64_f32_e32 v[0:1], v37
	s_delay_alu instid0(VALU_DEP_1) | instskip(SKIP_1) | instid1(VALU_DEP_1)
	v_frexp_exp_i32_f64_e32 v0, v[0:1]
	v_frexp_mant_f32_e32 v1, v37
	v_cmp_gt_f32_e64 s0, 0x3f2aaaab, v1
	s_delay_alu instid0(VALU_DEP_1) | instskip(SKIP_2) | instid1(VALU_DEP_1)
	v_subrev_co_ci_u32_e64 v52, null, 0, v0, s0
	v_add_f32_e32 v0, -1.0, v37
	s_mov_b32 s0, 0x3e9b6dac
	v_dual_sub_f32 v48, v0, v37 :: v_dual_sub_nc_u32 v1, 0, v52
	s_delay_alu instid0(VALU_DEP_1) | instskip(NEXT) | instid1(VALU_DEP_1)
	v_ldexp_f32 v37, v37, v1
	v_dual_add_f32 v49, 1.0, v37 :: v_dual_add_f32 v51, -1.0, v37
	v_sub_f32_e32 v0, v55, v0
	s_delay_alu instid0(VALU_DEP_4) | instskip(NEXT) | instid1(VALU_DEP_1)
	v_add_f32_e32 v48, 1.0, v48
	v_dual_add_f32 v0, v0, v48 :: v_dual_add_f32 v48, -1.0, v49
	s_delay_alu instid0(VALU_DEP_1) | instskip(NEXT) | instid1(VALU_DEP_2)
	v_ldexp_f32 v0, v0, v1
	v_dual_sub_f32 v1, v37, v48 :: v_dual_add_f32 v48, 1.0, v51
	s_delay_alu instid0(VALU_DEP_1) | instskip(NEXT) | instid1(VALU_DEP_1)
	v_dual_add_f32 v50, v0, v1 :: v_dual_sub_f32 v1, v37, v48
	v_dual_add_f32 v37, v49, v50 :: v_dual_add_f32 v53, v0, v1
	s_delay_alu instid0(VALU_DEP_1) | instskip(SKIP_1) | instid1(VALU_DEP_1)
	v_rcp_f32_e32 v56, v37
	v_sub_f32_e32 v0, v49, v37
	v_dual_add_f32 v1, v51, v53 :: v_dual_add_f32 v58, v50, v0
	s_delay_alu instid0(TRANS32_DEP_1) | instid1(VALU_DEP_1)
	v_dual_mul_f32 v57, v1, v56 :: v_dual_sub_f32 v59, v51, v1
	s_delay_alu instid0(VALU_DEP_1) | instskip(NEXT) | instid1(VALU_DEP_1)
	v_mul_f32_e32 v48, v37, v57
	v_fma_f32 v50, v57, v37, -v48
	s_delay_alu instid0(VALU_DEP_1) | instskip(NEXT) | instid1(VALU_DEP_1)
	v_fmac_f32_e32 v50, v57, v58
	v_add_f32_e32 v0, v48, v50
	s_delay_alu instid0(VALU_DEP_1) | instskip(NEXT) | instid1(VALU_DEP_1)
	v_dual_sub_f32 v49, v1, v0 :: v_dual_mov_b32 v51, v0
	v_pk_add_f32 v[0:1], v[0:1], v[48:49] neg_lo:[0,1] neg_hi:[0,1]
	s_delay_alu instid0(VALU_DEP_1) | instskip(SKIP_1) | instid1(VALU_DEP_1)
	v_pk_add_f32 v[0:1], v[0:1], v[50:51] neg_lo:[0,1] neg_hi:[0,1]
	v_add_f32_e32 v48, v53, v59
	v_add_f32_e32 v1, v48, v1
	s_delay_alu instid0(VALU_DEP_1) | instskip(NEXT) | instid1(VALU_DEP_1)
	v_add_f32_e32 v53, v0, v1
	v_add_f32_e32 v1, v49, v53
	s_delay_alu instid0(VALU_DEP_1) | instskip(NEXT) | instid1(VALU_DEP_1)
	v_mul_f32_e32 v59, v56, v1
	v_mul_f32_e32 v50, v37, v59
	s_delay_alu instid0(VALU_DEP_1) | instskip(NEXT) | instid1(VALU_DEP_1)
	v_fma_f32 v48, v59, v37, -v50
	v_fmac_f32_e32 v48, v59, v58
	s_delay_alu instid0(VALU_DEP_1) | instskip(NEXT) | instid1(VALU_DEP_1)
	v_add_f32_e32 v0, v50, v48
	v_sub_f32_e32 v51, v1, v0
	v_dual_sub_f32 v37, v49, v1 :: v_dual_mov_b32 v49, v0
	s_delay_alu instid0(VALU_DEP_2) | instskip(NEXT) | instid1(VALU_DEP_2)
	v_pk_add_f32 v[0:1], v[0:1], v[50:51] neg_lo:[0,1] neg_hi:[0,1]
	v_add_f32_e32 v37, v53, v37
	s_delay_alu instid0(VALU_DEP_2) | instskip(SKIP_1) | instid1(VALU_DEP_2)
	v_pk_add_f32 v[0:1], v[0:1], v[48:49] neg_lo:[0,1] neg_hi:[0,1]
	v_cvt_f32_i32_e32 v48, v52
	v_add_f32_e32 v1, v37, v1
	s_delay_alu instid0(VALU_DEP_1) | instskip(NEXT) | instid1(VALU_DEP_1)
	v_dual_add_f32 v37, v57, v59 :: v_dual_add_f32 v0, v0, v1
	v_dual_sub_f32 v1, v37, v57 :: v_dual_add_f32 v0, v51, v0
	s_delay_alu instid0(VALU_DEP_1) | instskip(NEXT) | instid1(VALU_DEP_1)
	v_dual_sub_f32 v1, v59, v1 :: v_dual_mul_f32 v0, v56, v0
	v_dual_add_f32 v53, v1, v0 :: v_dual_mov_b32 v0, 0x3f317218
	s_delay_alu instid0(VALU_DEP_1) | instskip(NEXT) | instid1(VALU_DEP_1)
	v_add_f32_e32 v50, v37, v53
	v_mul_f32_e32 v1, v50, v50
	s_delay_alu instid0(VALU_DEP_1) | instskip(SKIP_2) | instid1(VALU_DEP_3)
	v_fmaak_f32 v51, s0, v1, 0x3ecc95a3
	v_mul_f32_e32 v49, v50, v1
	v_cmp_neq_f32_e64 s0, 0x7f800000, v55
	v_fmaak_f32 v1, v1, v51, 0x3f2aaada
	s_delay_alu instid0(VALU_DEP_1) | instskip(NEXT) | instid1(VALU_DEP_1)
	v_pk_mul_f32 v[0:1], v[48:49], v[0:1]
	v_fma_f32 v51, 0x3f317218, v48, -v0
	v_mov_b32_e32 v52, v0
	v_ldexp_f32 v49, v50, 1
	s_delay_alu instid0(VALU_DEP_3) | instskip(NEXT) | instid1(VALU_DEP_1)
	v_dual_sub_f32 v37, v50, v37 :: v_dual_fmamk_f32 v48, v48, 0xb102e308, v51
	v_sub_f32_e32 v37, v53, v37
	s_delay_alu instid0(VALU_DEP_2) | instskip(NEXT) | instid1(VALU_DEP_2)
	v_pk_add_f32 v[50:51], v[0:1], v[48:49]
	v_ldexp_f32 v37, v37, 1
	s_delay_alu instid0(VALU_DEP_2) | instskip(NEXT) | instid1(VALU_DEP_1)
	v_dual_sub_f32 v49, v51, v49 :: v_dual_mov_b32 v62, v51
	v_sub_f32_e32 v49, v1, v49
	s_delay_alu instid0(VALU_DEP_4) | instskip(NEXT) | instid1(VALU_DEP_2)
	v_pk_add_f32 v[0:1], v[50:51], v[0:1] neg_lo:[0,1] neg_hi:[0,1]
	v_dual_add_f32 v53, v37, v49 :: v_dual_mov_b32 v49, v50
	s_delay_alu instid0(VALU_DEP_1) | instskip(NEXT) | instid1(VALU_DEP_1)
	v_pk_add_f32 v[56:57], v[50:51], v[52:53]
	v_mov_b32_e32 v1, v57
	s_delay_alu instid0(VALU_DEP_1) | instskip(SKIP_2) | instid1(VALU_DEP_3)
	v_pk_add_f32 v[58:59], v[48:49], v[0:1]
	v_mov_b32_e32 v58, v57
	v_pk_add_f32 v[0:1], v[48:49], v[0:1] neg_lo:[0,1] neg_hi:[0,1]
	v_dual_mov_b32 v52, v59 :: v_dual_mov_b32 v1, v59
	s_delay_alu instid0(VALU_DEP_1) | instskip(NEXT) | instid1(VALU_DEP_1)
	v_pk_add_f32 v[60:61], v[52:53], v[50:51] neg_lo:[0,1] neg_hi:[0,1]
	v_dual_mov_b32 v51, v50 :: v_dual_mov_b32 v63, v60
	v_dual_mov_b32 v37, v60 :: v_dual_mov_b32 v50, v53
	s_delay_alu instid0(VALU_DEP_2) | instskip(NEXT) | instid1(VALU_DEP_2)
	v_pk_add_f32 v[60:61], v[58:59], v[62:63] neg_lo:[0,1] neg_hi:[0,1]
	v_pk_add_f32 v[48:49], v[56:57], v[36:37] neg_lo:[0,1] neg_hi:[0,1]
	v_mov_b32_e32 v48, v0
	s_delay_alu instid0(VALU_DEP_3) | instskip(NEXT) | instid1(VALU_DEP_1)
	v_pk_add_f32 v[50:51], v[50:51], v[60:61] neg_lo:[0,1] neg_hi:[0,1]
	v_pk_add_f32 v[48:49], v[48:49], v[50:51]
	s_delay_alu instid0(VALU_DEP_1) | instskip(NEXT) | instid1(VALU_DEP_1)
	v_mov_b32_e32 v56, v49
	v_pk_add_f32 v[56:57], v[48:49], v[56:57]
	s_delay_alu instid0(VALU_DEP_1) | instskip(NEXT) | instid1(VALU_DEP_1)
	v_pk_add_f32 v[52:53], v[52:53], v[56:57]
	v_dual_mov_b32 v51, v56 :: v_dual_mov_b32 v49, v52
	s_delay_alu instid0(VALU_DEP_1) | instskip(NEXT) | instid1(VALU_DEP_1)
	v_pk_add_f32 v[58:59], v[48:49], v[0:1] neg_lo:[0,1] neg_hi:[0,1]
	v_sub_f32_e32 v1, v48, v58
	s_delay_alu instid0(VALU_DEP_2) | instskip(NEXT) | instid1(VALU_DEP_2)
	v_pk_add_f32 v[48:49], v[50:51], v[58:59] neg_lo:[0,1] neg_hi:[0,1]
	v_sub_f32_e32 v0, v0, v1
	s_delay_alu instid0(VALU_DEP_1) | instskip(NEXT) | instid1(VALU_DEP_1)
	v_add_f32_e32 v0, v48, v0
	v_add_f32_e32 v0, v0, v49
	s_delay_alu instid0(VALU_DEP_1) | instskip(NEXT) | instid1(VALU_DEP_1)
	v_add_f32_e32 v0, v52, v0
	v_cndmask_b32_e64 v0, 0x7f800000, v0, s0
	v_cmp_gt_f32_e64 s0, 0x33800000, v55
	s_delay_alu instid0(VALU_DEP_1)
	v_cndmask_b32_e64 v37, v0, v55, s0
.LBB9_28:
	s_or_b32 exec_lo, exec_lo, s1
	v_add_nc_u64_e32 v[0:1], s[12:13], v[24:25]
	s_delay_alu instid0(VALU_DEP_2)
	v_dual_mul_f32 v25, v37, v14 :: v_dual_mov_b32 v52, 0
	v_dual_mul_f32 v53, v37, v15 :: v_dual_mul_f32 v55, v37, v16
	v_dual_mul_f32 v85, v37, v17 :: v_dual_mul_f32 v88, v37, v10
	global_load_b32 v24, v[0:1], off
	v_dual_mul_f32 v89, v37, v11 :: v_dual_mul_f32 v90, v37, v12
	v_dual_mul_f32 v95, v37, v9 :: v_dual_mul_f32 v96, v37, v2
	;; [unrolled: 1-line block ×5, first 2 shown]
	s_delay_alu instid0(VALU_DEP_3)
	v_dual_mul_f32 v99, v37, v5 :: v_dual_mul_f32 v104, 0x3fb8aa3b, v91
	v_dual_mul_f32 v84, 0x3fb8aa3b, v25 :: v_dual_mul_f32 v87, 0x3fb8aa3b, v55
	;; [unrolled: 1-line block ×5, first 2 shown]
	ds_load_b128 v[48:51], v52
	ds_load_b128 v[56:59], v52 offset:16
	ds_load_b128 v[60:63], v52 offset:32
	;; [unrolled: 1-line block ×3, first 2 shown]
	v_dual_mul_f32 v102, 0x3fb8aa3b, v89 :: v_dual_mul_f32 v105, 0x3fb8aa3b, v92
	ds_load_b128 v[68:71], v52 offset:64
	ds_load_b128 v[72:75], v52 offset:80
	v_dual_mul_f32 v106, 0x3fb8aa3b, v93 :: v_dual_mul_f32 v107, 0x3fb8aa3b, v94
	v_dual_mul_f32 v110, 0x3fb8aa3b, v97 :: v_dual_mul_f32 v111, 0x3fb8aa3b, v99
	ds_load_b128 v[76:79], v52 offset:96
	ds_load_b128 v[80:83], v52 offset:112
	v_fma_f32 v112, 0x3fb8aa3b, v25, -v84
	v_rndne_f32_e32 v113, v84
	v_rndne_f32_e32 v117, v87
	v_mul_f32_e32 v52, 0x3fb8aa3b, v98
	v_fma_f32 v124, 0x3fb8aa3b, v90, -v103
	v_fma_f32 v136, 0x3fb8aa3b, v96, -v109
	v_rndne_f32_e32 v137, v109
	v_rndne_f32_e32 v115, v86
	v_fma_f32 v116, 0x3fb8aa3b, v55, -v87
	v_rndne_f32_e32 v123, v102
	v_fma_f32 v130, 0x3fb8aa3b, v93, -v106
	;; [unrolled: 2-line block ×3, first 2 shown]
	v_rndne_f32_e32 v133, v107
	v_rndne_f32_e32 v139, v110
	;; [unrolled: 1-line block ×3, first 2 shown]
	v_fmac_f32_e32 v112, 0x32a5705f, v25
	v_sub_f32_e32 v84, v84, v113
	v_sub_f32_e32 v87, v87, v117
	v_fma_f32 v140, 0x3fb8aa3b, v98, -v52
	v_rndne_f32_e32 v141, v52
	v_dual_fmac_f32 v124, 0x32a5705f, v90 :: v_dual_sub_f32 v109, v109, v137
	v_fmac_f32_e32 v136, 0x32a5705f, v96
	v_fma_f32 v114, 0x3fb8aa3b, v53, -v86
	v_rndne_f32_e32 v121, v101
	v_fma_f32 v122, 0x3fb8aa3b, v89, -v102
	v_fma_f32 v138, 0x3fb8aa3b, v97, -v110
	;; [unrolled: 1-line block ×3, first 2 shown]
	v_sub_f32_e32 v86, v86, v115
	v_dual_sub_f32 v102, v102, v123 :: v_dual_sub_f32 v107, v107, v133
	v_dual_sub_f32 v106, v106, v131 :: v_dual_sub_f32 v52, v52, v141
	v_dual_fmac_f32 v132, 0x32a5705f, v94 :: v_dual_add_f32 v109, v109, v136
	v_fmac_f32_e32 v130, 0x32a5705f, v93
	v_dual_fmac_f32 v140, 0x32a5705f, v98 :: v_dual_sub_f32 v111, v111, v143
	v_dual_sub_f32 v110, v110, v139 :: v_dual_add_f32 v84, v84, v112
	v_fma_f32 v118, 0x3fb8aa3b, v85, -v100
	v_rndne_f32_e32 v119, v100
	v_fma_f32 v120, 0x3fb8aa3b, v88, -v101
	v_rndne_f32_e32 v127, v104
	v_rndne_f32_e32 v129, v105
	v_dual_fmac_f32 v116, 0x32a5705f, v55 :: v_dual_sub_f32 v101, v101, v121
	v_dual_fmac_f32 v114, 0x32a5705f, v53 :: v_dual_add_f32 v107, v107, v132
	v_dual_add_f32 v106, v106, v130 :: v_dual_add_f32 v52, v52, v140
	v_exp_f32_e32 v84, v84
	v_rndne_f32_e32 v125, v103
	v_fma_f32 v126, 0x3fb8aa3b, v91, -v104
	v_fma_f32 v128, 0x3fb8aa3b, v92, -v105
	v_cvt_i32_f32_e32 v113, v113
	s_delay_alu instid0(VALU_DEP_4)
	v_dual_sub_f32 v100, v100, v119 :: v_dual_sub_f32 v103, v103, v125
	v_dual_fmac_f32 v120, 0x32a5705f, v88 :: v_dual_sub_f32 v105, v105, v129
	v_dual_fmac_f32 v118, 0x32a5705f, v85 :: v_dual_add_f32 v87, v87, v116
	v_dual_sub_f32 v104, v104, v127 :: v_dual_add_f32 v86, v86, v114
	v_exp_f32_e32 v52, v52
	v_cvt_i32_f32_e32 v141, v141
	v_add_f32_e32 v101, v101, v120
	v_ldexp_f32 v84, v84, v113
	v_exp_f32_e32 v86, v86
	v_cmp_ngt_f32_e64 s0, 0xc2ce8ed0, v25
	v_add_f32_e32 v100, v100, v118
	v_cvt_i32_f32_e32 v115, v115
	v_exp_f32_e32 v87, v87
	v_ldexp_f32 v112, v52, v141
	v_cndmask_b32_e64 v52, 0, v84, s0
	v_exp_f32_e32 v100, v100
	v_cvt_i32_f32_e32 v117, v117
	v_cvt_i32_f32_e32 v119, v119
	v_fmac_f32_e32 v142, 0x32a5705f, v99
	v_ldexp_f32 v86, v86, v115
	v_cmp_ngt_f32_e64 s0, 0xc2ce8ed0, v53
	v_rndne_f32_e32 v135, v108
	v_dual_fmac_f32 v122, 0x32a5705f, v89 :: v_dual_add_f32 v103, v103, v124
	v_dual_fmac_f32 v128, 0x32a5705f, v92 :: v_dual_add_f32 v111, v111, v142
	v_fmac_f32_e32 v126, 0x32a5705f, v91
	v_ldexp_f32 v87, v87, v117
	v_ldexp_f32 v100, v100, v119
	v_cndmask_b32_e64 v86, 0, v86, s0
	v_cmp_ngt_f32_e64 s0, 0xc2ce8ed0, v55
	v_fma_f32 v134, 0x3fb8aa3b, v95, -v108
	v_dual_sub_f32 v108, v108, v135 :: v_dual_add_f32 v102, v102, v122
	v_exp_f32_e32 v101, v101
	v_cvt_i32_f32_e32 v121, v121
	v_dual_add_f32 v105, v105, v128 :: v_dual_add_f32 v104, v104, v126
	v_cndmask_b32_e64 v87, 0, v87, s0
	v_cmp_ngt_f32_e64 s0, 0xc2ce8ed0, v85
	v_exp_f32_e32 v102, v102
	v_cvt_i32_f32_e32 v123, v123
	v_ldexp_f32 v101, v101, v121
	v_exp_f32_e32 v103, v103
	v_cndmask_b32_e64 v100, 0, v100, s0
	v_cmp_ngt_f32_e64 s0, 0xc2ce8ed0, v88
	v_cvt_i32_f32_e32 v125, v125
	v_ldexp_f32 v102, v102, v123
	v_exp_f32_e32 v104, v104
	v_cvt_i32_f32_e32 v127, v127
	v_cndmask_b32_e64 v101, 0, v101, s0
	v_cmp_ngt_f32_e64 s0, 0xc2ce8ed0, v89
	v_ldexp_f32 v103, v103, v125
	v_exp_f32_e32 v105, v105
	v_cvt_i32_f32_e32 v129, v129
	v_ldexp_f32 v104, v104, v127
	v_cndmask_b32_e64 v102, 0, v102, s0
	v_cmp_ngt_f32_e64 s0, 0xc2ce8ed0, v90
	v_exp_f32_e32 v106, v106
	v_cvt_i32_f32_e32 v131, v131
	v_ldexp_f32 v105, v105, v129
	v_exp_f32_e32 v107, v107
	v_cndmask_b32_e64 v103, 0, v103, s0
	v_cmp_ngt_f32_e64 s0, 0xc2ce8ed0, v91
	v_cvt_i32_f32_e32 v133, v133
	v_ldexp_f32 v106, v106, v131
	v_exp_f32_e32 v109, v109
	v_cvt_i32_f32_e32 v137, v137
	v_cndmask_b32_e64 v104, 0, v104, s0
	v_cmp_ngt_f32_e64 s0, 0xc2ce8ed0, v92
	v_ldexp_f32 v107, v107, v133
	v_cvt_i32_f32_e32 v135, v135
	v_cvt_i32_f32_e32 v139, v139
	v_ldexp_f32 v109, v109, v137
	v_cndmask_b32_e64 v105, 0, v105, s0
	v_cmp_ngt_f32_e64 s0, 0xc2ce8ed0, v93
	v_exp_f32_e32 v111, v111
	v_cvt_i32_f32_e32 v143, v143
	s_delay_alu instid0(VALU_DEP_2)
	v_cndmask_b32_e64 v106, 0, v106, s0
	v_cmp_nlt_f32_e64 s0, 0x42b17218, v25
	s_delay_alu instid0(TRANS32_DEP_1) | instid1(VALU_DEP_3)
	v_ldexp_f32 v111, v111, v143
	s_wait_loadcnt 0x0
	v_mul_f32_e32 v84, v37, v24
	s_delay_alu instid0(VALU_DEP_3) | instskip(SKIP_1) | instid1(VALU_DEP_1)
	v_cndmask_b32_e64 v24, 0x7f800000, v52, s0
	v_cmp_nlt_f32_e64 s0, 0x42b17218, v53
	v_cndmask_b32_e64 v25, 0x7f800000, v86, s0
	v_cmp_ngt_f32_e64 s0, 0xc2ce8ed0, v94
	s_delay_alu instid0(VALU_DEP_1) | instskip(SKIP_3) | instid1(VALU_DEP_2)
	v_cndmask_b32_e64 v37, 0, v107, s0
	s_wait_dscnt 0x7
	v_pk_mul_f32 v[48:49], v[84:85], v[48:49] op_sel_hi:[0,1]
	v_cmp_nlt_f32_e64 s0, 0x42b17218, v55
	v_pk_fma_f32 v[52:53], v[26:27], v[24:25], v[48:49]
	s_delay_alu instid0(VALU_DEP_2)
	v_cndmask_b32_e64 v86, 0x7f800000, v87, s0
	v_cmp_nlt_f32_e64 s0, 0x42b17218, v85
	v_pk_mul_f32 v[26:27], v[84:85], v[50:51] op_sel_hi:[0,1]
	s_wait_dscnt 0x6
	v_pk_mul_f32 v[48:49], v[84:85], v[56:57] op_sel_hi:[0,1]
	s_wait_dscnt 0x3
	v_fma_f32 v55, v68, v52, 0
	v_fmac_f32_e32 v134, 0x32a5705f, v95
	v_cndmask_b32_e64 v87, 0x7f800000, v100, s0
	v_cmp_nlt_f32_e64 s0, 0x42b17218, v88
	s_delay_alu instid0(VALU_DEP_3) | instskip(NEXT) | instid1(VALU_DEP_3)
	v_dual_fmac_f32 v55, v69, v53 :: v_dual_add_f32 v108, v108, v134
	v_pk_fma_f32 v[50:51], v[28:29], v[86:87], v[26:27]
	s_delay_alu instid0(VALU_DEP_3) | instskip(SKIP_1) | instid1(VALU_DEP_4)
	v_cndmask_b32_e64 v24, 0x7f800000, v101, s0
	v_cmp_nlt_f32_e64 s0, 0x42b17218, v89
	v_exp_f32_e32 v108, v108
	s_delay_alu instid0(VALU_DEP_3) | instskip(NEXT) | instid1(VALU_DEP_2)
	v_dual_fmac_f32 v55, v70, v50 :: v_dual_fmac_f32 v138, 0x32a5705f, v97
	v_cndmask_b32_e64 v25, 0x7f800000, v102, s0
	v_cmp_ngt_f32_e64 s0, 0xc2ce8ed0, v95
	s_delay_alu instid0(VALU_DEP_3) | instskip(NEXT) | instid1(TRANS32_DEP_1)
	v_fmac_f32_e32 v55, v71, v51
	v_ldexp_f32 v108, v108, v135
	v_add_f32_e32 v110, v110, v138
	v_pk_fma_f32 v[48:49], v[30:31], v[24:25], v[48:49]
	v_pk_mul_f32 v[24:25], v[84:85], v[58:59] op_sel_hi:[0,1]
	s_delay_alu instid0(VALU_DEP_4) | instskip(SKIP_4) | instid1(VALU_DEP_2)
	v_cndmask_b32_e64 v68, 0, v108, s0
	v_cmp_nlt_f32_e64 s0, 0x42b17218, v90
	v_exp_f32_e32 v110, v110
	s_wait_dscnt 0x2
	v_pk_mul_f32 v[28:29], v[72:73], v[48:49]
	v_cndmask_b32_e64 v26, 0x7f800000, v103, s0
	v_cmp_nlt_f32_e64 s0, 0x42b17218, v91
	s_delay_alu instid0(TRANS32_DEP_1) | instskip(NEXT) | instid1(VALU_DEP_2)
	v_ldexp_f32 v110, v110, v139
	v_cndmask_b32_e64 v27, 0x7f800000, v104, s0
	v_cmp_ngt_f32_e64 s0, 0xc2ce8ed0, v96
	s_delay_alu instid0(VALU_DEP_2) | instskip(NEXT) | instid1(VALU_DEP_2)
	v_pk_fma_f32 v[30:31], v[32:33], v[26:27], v[24:25]
	v_cndmask_b32_e64 v58, 0, v109, s0
	v_cmp_nlt_f32_e64 s0, 0x42b17218, v92
	v_pk_mul_f32 v[24:25], v[84:85], v[60:61] op_sel_hi:[0,1]
	s_delay_alu instid0(VALU_DEP_4) | instskip(NEXT) | instid1(VALU_DEP_3)
	v_pk_mul_f32 v[32:33], v[74:75], v[30:31]
	v_cndmask_b32_e64 v56, 0x7f800000, v105, s0
	v_cmp_nlt_f32_e64 s0, 0x42b17218, v93
	s_delay_alu instid0(VALU_DEP_1) | instskip(SKIP_1) | instid1(VALU_DEP_1)
	v_cndmask_b32_e64 v57, 0x7f800000, v106, s0
	v_cmp_ngt_f32_e64 s0, 0xc2ce8ed0, v97
	v_dual_add_f32 v26, v55, v28 :: v_dual_cndmask_b32 v55, 0, v110, s0
	v_cmp_nlt_f32_e64 s0, 0x42b17218, v94
	s_delay_alu instid0(VALU_DEP_2) | instskip(SKIP_2) | instid1(VALU_DEP_4)
	v_add_f32_e32 v29, v26, v29
	v_pk_fma_f32 v[26:27], v[42:43], v[56:57], v[24:25]
	v_pk_mul_f32 v[24:25], v[84:85], v[62:63] op_sel_hi:[0,1]
	v_cndmask_b32_e64 v28, 0x7f800000, v37, s0
	v_cmp_nlt_f32_e64 s0, 0x42b17218, v95
	s_wait_dscnt 0x1
	v_pk_mul_f32 v[42:43], v[76:77], v[26:27]
	v_add_f32_e32 v32, v29, v32
	s_delay_alu instid0(VALU_DEP_3) | instskip(SKIP_1) | instid1(VALU_DEP_3)
	v_cndmask_b32_e64 v29, 0x7f800000, v68, s0
	v_cmp_ngt_f32_e64 s0, 0xc2ce8ed0, v98
	v_add_f32_e32 v33, v32, v33
	s_delay_alu instid0(VALU_DEP_3) | instskip(NEXT) | instid1(VALU_DEP_2)
	v_pk_fma_f32 v[28:29], v[44:45], v[28:29], v[24:25]
	v_dual_cndmask_b32 v37, 0, v112, s0 :: v_dual_add_f32 v42, v33, v42
	v_cmp_nlt_f32_e64 s0, 0x42b17218, v96
	v_pk_mul_f32 v[24:25], v[84:85], v[64:65] op_sel_hi:[0,1]
	s_delay_alu instid0(VALU_DEP_4) | instskip(NEXT) | instid1(VALU_DEP_4)
	v_pk_mul_f32 v[44:45], v[78:79], v[28:29]
	v_add_f32_e32 v43, v42, v43
	s_delay_alu instid0(VALU_DEP_4) | instskip(SKIP_1) | instid1(VALU_DEP_1)
	v_cndmask_b32_e64 v32, 0x7f800000, v58, s0
	v_cmp_nlt_f32_e64 s0, 0x42b17218, v97
	v_cndmask_b32_e64 v33, 0x7f800000, v55, s0
	v_cmp_ngt_f32_e64 s0, 0xc2ce8ed0, v99
	s_delay_alu instid0(VALU_DEP_2) | instskip(NEXT) | instid1(VALU_DEP_2)
	v_pk_fma_f32 v[24:25], v[46:47], v[32:33], v[24:25]
	v_cndmask_b32_e64 v55, 0, v111, s0
	v_cmp_nlt_f32_e64 s0, 0x42b17218, v98
	v_pk_mul_f32 v[32:33], v[84:85], v[66:67] op_sel_hi:[0,1]
	s_wait_dscnt 0x0
	v_pk_mul_f32 v[46:47], v[80:81], v[24:25]
	s_delay_alu instid0(VALU_DEP_3) | instskip(SKIP_2) | instid1(VALU_DEP_2)
	v_cndmask_b32_e64 v42, 0x7f800000, v37, s0
	v_cmp_nlt_f32_e64 s0, 0x42b17218, v99
	v_add_f32_e32 v37, v43, v44
	v_cndmask_b32_e64 v43, 0x7f800000, v55, s0
	s_delay_alu instid0(VALU_DEP_2) | instskip(SKIP_1) | instid1(SALU_CYCLE_1)
	v_add_f32_e32 v37, v37, v45
	s_lshl_b64 s[0:1], s[6:7], 2
	v_add_nc_u64_e32 v[18:19], s[0:1], v[18:19]
	s_delay_alu instid0(VALU_DEP_3) | instskip(NEXT) | instid1(VALU_DEP_1)
	v_pk_fma_f32 v[20:21], v[20:21], v[42:43], v[32:33]
	v_pk_mul_f32 v[32:33], v[82:83], v[20:21]
	v_add_f32_e32 v37, v37, v46
	s_delay_alu instid0(VALU_DEP_1) | instskip(NEXT) | instid1(VALU_DEP_1)
	v_add_f32_e32 v37, v37, v47
	v_add_f32_e32 v32, v37, v32
	s_delay_alu instid0(VALU_DEP_1)
	v_add_f32_e32 v32, v32, v33
	global_store_b32 v[18:19], v32, off
	s_wait_storecnt 0x0
	s_barrier_signal -1
	s_barrier_wait -1
	s_wait_xcnt 0x0
	s_and_saveexec_b32 s3, vcc_lo
	s_cbranch_execz .LBB9_30
; %bb.29:
	v_mad_nc_i64_i32 v[32:33], s8, 28, v[40:41]
	v_mad_nc_i64_i32 v[38:39], s2, 28, v[38:39]
	global_load_b32 v37, v[32:33], off
	global_load_b32 v40, v[38:39], off
	s_wait_loadcnt 0x1
	ds_store_b32 v36, v37
	s_wait_loadcnt 0x0
	ds_store_b32 v54, v40
.LBB9_30:
	s_or_b32 exec_lo, exec_lo, s3
	v_add_nc_u64_e32 v[22:23], s[14:15], v[22:23]
	s_wait_dscnt 0x0
	s_barrier_signal -1
	s_barrier_wait -1
	s_mov_b32 s2, exec_lo
	global_load_b32 v22, v[22:23], off
	s_wait_loadcnt 0x0
	v_cmpx_ge_f32_e32 0x41a00000, v22
	s_cbranch_execz .LBB9_32
; %bb.31:
	v_mul_f32_e32 v23, 0x3fb8aa3b, v22
	v_cmp_ngt_f32_e32 vcc_lo, 0xc2ce8ed0, v22
	s_mov_b32 s3, 0x3e9b6dac
	s_delay_alu instid0(VALU_DEP_2) | instskip(SKIP_1) | instid1(VALU_DEP_2)
	v_rndne_f32_e32 v32, v23
	v_fma_f32 v33, 0x3fb8aa3b, v22, -v23
	v_sub_f32_e32 v23, v23, v32
	s_delay_alu instid0(VALU_DEP_2) | instskip(SKIP_1) | instid1(VALU_DEP_2)
	v_fmamk_f32 v33, v22, 0x32a5705f, v33
	v_cvt_i32_f32_e32 v32, v32
	v_add_f32_e32 v23, v23, v33
	s_delay_alu instid0(VALU_DEP_1) | instskip(SKIP_1) | instid1(TRANS32_DEP_1)
	v_exp_f32_e32 v23, v23
	v_nop
	v_ldexp_f32 v23, v23, v32
	s_delay_alu instid0(VALU_DEP_1) | instskip(SKIP_1) | instid1(VALU_DEP_2)
	v_cndmask_b32_e32 v23, 0, v23, vcc_lo
	v_cmp_nlt_f32_e32 vcc_lo, 0x42b17218, v22
	v_cndmask_b32_e32 v54, 0x7f800000, v23, vcc_lo
	s_delay_alu instid0(VALU_DEP_1) | instskip(NEXT) | instid1(VALU_DEP_1)
	v_add_f32_e32 v32, 1.0, v54
	v_cvt_f64_f32_e32 v[22:23], v32
	s_delay_alu instid0(VALU_DEP_1) | instskip(SKIP_1) | instid1(VALU_DEP_1)
	v_frexp_exp_i32_f64_e32 v22, v[22:23]
	v_frexp_mant_f32_e32 v23, v32
	v_cmp_gt_f32_e32 vcc_lo, 0x3f2aaaab, v23
	s_delay_alu instid0(VALU_DEP_3) | instskip(NEXT) | instid1(VALU_DEP_1)
	v_subrev_co_ci_u32_e64 v38, null, 0, v22, vcc_lo
	v_dual_add_f32 v22, -1.0, v32 :: v_dual_sub_nc_u32 v23, 0, v38
	v_cmp_neq_f32_e32 vcc_lo, 0x7f800000, v54
	s_delay_alu instid0(VALU_DEP_2) | instskip(SKIP_1) | instid1(VALU_DEP_4)
	v_sub_f32_e32 v33, v22, v32
	v_sub_f32_e32 v22, v54, v22
	v_ldexp_f32 v32, v32, v23
	s_delay_alu instid0(VALU_DEP_1) | instskip(NEXT) | instid1(VALU_DEP_1)
	v_dual_add_f32 v33, 1.0, v33 :: v_dual_add_f32 v37, -1.0, v32
	v_dual_add_f32 v36, 1.0, v32 :: v_dual_add_f32 v22, v22, v33
	s_delay_alu instid0(VALU_DEP_1) | instskip(NEXT) | instid1(VALU_DEP_2)
	v_add_f32_e32 v33, -1.0, v36
	v_ldexp_f32 v22, v22, v23
	s_delay_alu instid0(VALU_DEP_2) | instskip(NEXT) | instid1(VALU_DEP_1)
	v_sub_f32_e32 v23, v32, v33
	v_dual_add_f32 v33, 1.0, v37 :: v_dual_add_f32 v39, v22, v23
	s_delay_alu instid0(VALU_DEP_1) | instskip(NEXT) | instid1(VALU_DEP_2)
	v_add_f32_e32 v40, v36, v39
	v_sub_f32_e32 v23, v32, v33
	s_delay_alu instid0(VALU_DEP_1) | instskip(NEXT) | instid1(VALU_DEP_1)
	v_add_f32_e32 v41, v22, v23
	v_add_f32_e32 v23, v37, v41
	s_delay_alu instid0(VALU_DEP_4) | instskip(SKIP_1) | instid1(TRANS32_DEP_1)
	v_rcp_f32_e32 v42, v40
	v_nop
	v_dual_sub_f32 v44, v37, v23 :: v_dual_mul_f32 v43, v23, v42
	v_sub_f32_e32 v22, v36, v40
	s_delay_alu instid0(VALU_DEP_1) | instskip(NEXT) | instid1(VALU_DEP_1)
	v_dual_mul_f32 v32, v40, v43 :: v_dual_add_f32 v39, v39, v22
	v_fma_f32 v36, v43, v40, -v32
	s_delay_alu instid0(VALU_DEP_1) | instskip(NEXT) | instid1(VALU_DEP_1)
	v_fmac_f32_e32 v36, v43, v39
	v_add_f32_e32 v22, v32, v36
	s_delay_alu instid0(VALU_DEP_1) | instskip(NEXT) | instid1(VALU_DEP_1)
	v_dual_sub_f32 v33, v23, v22 :: v_dual_mov_b32 v37, v22
	v_pk_add_f32 v[22:23], v[22:23], v[32:33] neg_lo:[0,1] neg_hi:[0,1]
	v_add_f32_e32 v32, v41, v44
	s_delay_alu instid0(VALU_DEP_2) | instskip(NEXT) | instid1(VALU_DEP_1)
	v_pk_add_f32 v[22:23], v[22:23], v[36:37] neg_lo:[0,1] neg_hi:[0,1]
	v_add_f32_e32 v23, v32, v23
	s_delay_alu instid0(VALU_DEP_1) | instskip(NEXT) | instid1(VALU_DEP_1)
	v_add_f32_e32 v41, v22, v23
	v_add_f32_e32 v23, v33, v41
	s_delay_alu instid0(VALU_DEP_1) | instskip(NEXT) | instid1(VALU_DEP_1)
	v_mul_f32_e32 v44, v42, v23
	v_mul_f32_e32 v36, v40, v44
	s_delay_alu instid0(VALU_DEP_1) | instskip(NEXT) | instid1(VALU_DEP_1)
	v_fma_f32 v32, v44, v40, -v36
	v_fmac_f32_e32 v32, v44, v39
	s_delay_alu instid0(VALU_DEP_1) | instskip(NEXT) | instid1(VALU_DEP_1)
	v_dual_sub_f32 v39, v33, v23 :: v_dual_add_f32 v22, v36, v32
	v_dual_sub_f32 v37, v23, v22 :: v_dual_mov_b32 v33, v22
	s_delay_alu instid0(VALU_DEP_1) | instskip(NEXT) | instid1(VALU_DEP_3)
	v_pk_add_f32 v[22:23], v[22:23], v[36:37] neg_lo:[0,1] neg_hi:[0,1]
	v_add_f32_e32 v36, v41, v39
	s_delay_alu instid0(VALU_DEP_2) | instskip(SKIP_1) | instid1(VALU_DEP_2)
	v_pk_add_f32 v[22:23], v[22:23], v[32:33] neg_lo:[0,1] neg_hi:[0,1]
	v_cvt_f32_i32_e32 v32, v38
	v_dual_add_f32 v23, v36, v23 :: v_dual_add_f32 v36, v43, v44
	s_delay_alu instid0(VALU_DEP_1) | instskip(NEXT) | instid1(VALU_DEP_1)
	v_add_f32_e32 v22, v22, v23
	v_dual_sub_f32 v23, v36, v43 :: v_dual_add_f32 v22, v37, v22
	s_delay_alu instid0(VALU_DEP_1) | instskip(NEXT) | instid1(VALU_DEP_1)
	v_dual_sub_f32 v23, v44, v23 :: v_dual_mul_f32 v22, v42, v22
	v_dual_add_f32 v39, v23, v22 :: v_dual_mov_b32 v22, 0x3f317218
	s_delay_alu instid0(VALU_DEP_1) | instskip(NEXT) | instid1(VALU_DEP_1)
	v_add_f32_e32 v37, v36, v39
	v_mul_f32_e32 v23, v37, v37
	s_delay_alu instid0(VALU_DEP_1) | instskip(NEXT) | instid1(VALU_DEP_1)
	v_dual_fmaak_f32 v40, s3, v23, 0x3ecc95a3 :: v_dual_mul_f32 v33, v37, v23
	v_fmaak_f32 v23, v23, v40, 0x3f2aaada
	s_delay_alu instid0(VALU_DEP_1) | instskip(NEXT) | instid1(VALU_DEP_1)
	v_pk_mul_f32 v[22:23], v[32:33], v[22:23]
	v_fma_f32 v38, 0x3f317218, v32, -v22
	s_delay_alu instid0(VALU_DEP_1) | instskip(SKIP_1) | instid1(VALU_DEP_1)
	v_fmamk_f32 v32, v32, 0xb102e308, v38
	v_sub_f32_e32 v38, v37, v36
	v_sub_f32_e32 v38, v39, v38
	v_ldexp_f32 v33, v37, 1
	s_delay_alu instid0(VALU_DEP_2) | instskip(NEXT) | instid1(VALU_DEP_2)
	v_ldexp_f32 v39, v38, 1
	v_pk_add_f32 v[36:37], v[22:23], v[32:33]
	s_delay_alu instid0(VALU_DEP_1) | instskip(NEXT) | instid1(VALU_DEP_1)
	v_dual_mov_b32 v38, v22 :: v_dual_sub_f32 v33, v37, v33
	v_sub_f32_e32 v33, v23, v33
	s_delay_alu instid0(VALU_DEP_3) | instskip(NEXT) | instid1(VALU_DEP_2)
	v_pk_add_f32 v[22:23], v[36:37], v[22:23] neg_lo:[0,1] neg_hi:[0,1]
	v_dual_add_f32 v39, v39, v33 :: v_dual_mov_b32 v33, v36
	s_delay_alu instid0(VALU_DEP_1) | instskip(NEXT) | instid1(VALU_DEP_1)
	v_pk_add_f32 v[40:41], v[36:37], v[38:39]
	v_dual_mov_b32 v46, v37 :: v_dual_mov_b32 v23, v41
	s_delay_alu instid0(VALU_DEP_1) | instskip(NEXT) | instid1(VALU_DEP_1)
	v_pk_add_f32 v[42:43], v[32:33], v[22:23]
	v_dual_mov_b32 v42, v41 :: v_dual_mov_b32 v38, v43
	v_pk_add_f32 v[22:23], v[32:33], v[22:23] neg_lo:[0,1] neg_hi:[0,1]
	s_delay_alu instid0(VALU_DEP_2) | instskip(SKIP_1) | instid1(VALU_DEP_2)
	v_pk_add_f32 v[44:45], v[38:39], v[36:37] neg_lo:[0,1] neg_hi:[0,1]
	v_dual_mov_b32 v37, v36 :: v_dual_mov_b32 v36, v39
	v_dual_mov_b32 v39, v44 :: v_dual_mov_b32 v47, v44
	s_delay_alu instid0(VALU_DEP_1) | instskip(NEXT) | instid1(VALU_DEP_2)
	v_pk_add_f32 v[32:33], v[40:41], v[38:39] neg_lo:[0,1] neg_hi:[0,1]
	v_pk_add_f32 v[44:45], v[42:43], v[46:47] neg_lo:[0,1] neg_hi:[0,1]
	v_mov_b32_e32 v32, v22
	s_delay_alu instid0(VALU_DEP_2) | instskip(NEXT) | instid1(VALU_DEP_1)
	v_pk_add_f32 v[36:37], v[36:37], v[44:45] neg_lo:[0,1] neg_hi:[0,1]
	v_pk_add_f32 v[32:33], v[32:33], v[36:37]
	s_delay_alu instid0(VALU_DEP_1) | instskip(NEXT) | instid1(VALU_DEP_1)
	v_mov_b32_e32 v40, v33
	v_pk_add_f32 v[40:41], v[32:33], v[40:41]
	s_delay_alu instid0(VALU_DEP_1) | instskip(NEXT) | instid1(VALU_DEP_1)
	v_pk_add_f32 v[38:39], v[38:39], v[40:41]
	v_dual_mov_b32 v23, v43 :: v_dual_mov_b32 v33, v38
	s_delay_alu instid0(VALU_DEP_1) | instskip(NEXT) | instid1(VALU_DEP_1)
	v_pk_add_f32 v[42:43], v[32:33], v[22:23] neg_lo:[0,1] neg_hi:[0,1]
	v_sub_f32_e32 v23, v32, v42
	s_delay_alu instid0(VALU_DEP_1) | instskip(NEXT) | instid1(VALU_DEP_1)
	v_dual_mov_b32 v37, v40 :: v_dual_sub_f32 v22, v22, v23
	v_pk_add_f32 v[32:33], v[36:37], v[42:43] neg_lo:[0,1] neg_hi:[0,1]
	s_delay_alu instid0(VALU_DEP_1) | instskip(NEXT) | instid1(VALU_DEP_1)
	v_add_f32_e32 v22, v32, v22
	v_add_f32_e32 v22, v22, v33
	s_delay_alu instid0(VALU_DEP_1) | instskip(NEXT) | instid1(VALU_DEP_1)
	v_add_f32_e32 v22, v38, v22
	v_cndmask_b32_e32 v22, 0x7f800000, v22, vcc_lo
	v_cmp_gt_f32_e32 vcc_lo, 0x33800000, v54
	s_delay_alu instid0(VALU_DEP_2)
	v_cndmask_b32_e32 v22, v22, v54, vcc_lo
.LBB9_32:
	s_or_b32 exec_lo, exec_lo, s2
	v_add_nc_u64_e32 v[0:1], s[12:13], v[0:1]
	s_delay_alu instid0(VALU_DEP_2)
	v_dual_mul_f32 v32, v22, v14 :: v_dual_mov_b32 v33, 0
	v_dual_mul_f32 v58, v22, v15 :: v_dual_mul_f32 v59, v22, v16
	v_dual_mul_f32 v17, v22, v17 :: v_dual_mul_f32 v60, v22, v10
	global_load_b32 v23, v[0:1], off
	v_dual_mul_f32 v61, v22, v11 :: v_dual_mul_f32 v62, v22, v12
	v_dual_mul_f32 v63, v22, v13 :: v_dual_mul_f32 v64, v22, v6
	;; [unrolled: 1-line block ×8, first 2 shown]
	s_wait_xcnt 0x0
	ds_load_b128 v[0:3], v33 offset:64
	ds_load_b128 v[4:7], v33 offset:80
	v_dual_mul_f32 v76, 0x3fb8aa3b, v61 :: v_dual_mul_f32 v77, 0x3fb8aa3b, v62
	v_dual_mul_f32 v78, 0x3fb8aa3b, v63 :: v_dual_mul_f32 v79, 0x3fb8aa3b, v64
	;; [unrolled: 1-line block ×3, first 2 shown]
	ds_load_b128 v[8:11], v33 offset:96
	ds_load_b128 v[12:15], v33 offset:112
	ds_load_b128 v[36:39], v33
	ds_load_b128 v[40:43], v33 offset:16
	ds_load_b128 v[44:47], v33 offset:32
	;; [unrolled: 1-line block ×3, first 2 shown]
	v_fma_f32 v33, 0x3fb8aa3b, v32, -v16
	v_rndne_f32_e32 v87, v16
	v_fma_f32 v88, 0x3fb8aa3b, v58, -v72
	v_rndne_f32_e32 v89, v72
	v_dual_mul_f32 v80, 0x3fb8aa3b, v65 :: v_dual_mul_f32 v81, 0x3fb8aa3b, v66
	v_dual_mul_f32 v84, 0x3fb8aa3b, v69 :: v_dual_mul_f32 v85, 0x3fb8aa3b, v70
	v_fma_f32 v90, 0x3fb8aa3b, v59, -v73
	v_rndne_f32_e32 v91, v73
	v_fma_f32 v92, 0x3fb8aa3b, v17, -v74
	v_rndne_f32_e32 v93, v74
	;; [unrolled: 2-line block ×4, first 2 shown]
	v_rndne_f32_e32 v99, v77
	v_rndne_f32_e32 v103, v79
	;; [unrolled: 1-line block ×3, first 2 shown]
	v_dual_fmac_f32 v33, 0x32a5705f, v32 :: v_dual_sub_f32 v16, v16, v87
	v_dual_fmac_f32 v88, 0x32a5705f, v58 :: v_dual_sub_f32 v73, v73, v91
	v_dual_sub_f32 v72, v72, v89 :: v_dual_sub_f32 v75, v75, v95
	v_mul_f32_e32 v86, 0x3fb8aa3b, v71
	v_fma_f32 v98, 0x3fb8aa3b, v62, -v77
	v_rndne_f32_e32 v101, v78
	v_fma_f32 v102, 0x3fb8aa3b, v64, -v79
	v_rndne_f32_e32 v105, v80
	v_rndne_f32_e32 v107, v81
	v_fma_f32 v110, 0x3fb8aa3b, v68, -v83
	v_rndne_f32_e32 v115, v85
	v_dual_fmac_f32 v92, 0x32a5705f, v17 :: v_dual_sub_f32 v77, v77, v99
	v_dual_sub_f32 v74, v74, v93 :: v_dual_sub_f32 v79, v79, v103
	v_fmac_f32_e32 v90, 0x32a5705f, v59
	v_fmac_f32_e32 v94, 0x32a5705f, v60
	v_dual_fmac_f32 v96, 0x32a5705f, v61 :: v_dual_sub_f32 v83, v83, v111
	v_sub_f32_e32 v76, v76, v97
	v_add_f32_e32 v16, v16, v33
	v_add_f32_e32 v33, v72, v88
	v_fma_f32 v100, 0x3fb8aa3b, v63, -v78
	v_fma_f32 v104, 0x3fb8aa3b, v65, -v80
	;; [unrolled: 1-line block ×4, first 2 shown]
	v_dual_sub_f32 v78, v78, v101 :: v_dual_add_f32 v72, v73, v90
	v_dual_sub_f32 v81, v81, v107 :: v_dual_sub_f32 v80, v80, v105
	v_dual_sub_f32 v85, v85, v115 :: v_dual_fmac_f32 v98, 0x32a5705f, v62
	v_dual_add_f32 v73, v74, v92 :: v_dual_add_f32 v74, v75, v94
	v_add_f32_e32 v75, v76, v96
	v_exp_f32_e32 v33, v33
	v_cvt_i32_f32_e32 v89, v89
	v_fma_f32 v108, 0x3fb8aa3b, v67, -v82
	v_rndne_f32_e32 v109, v82
	v_exp_f32_e32 v75, v75
	v_fma_f32 v112, 0x3fb8aa3b, v69, -v84
	v_rndne_f32_e32 v113, v84
	v_fma_f32 v116, 0x3fb8aa3b, v71, -v86
	v_rndne_f32_e32 v117, v86
	v_cvt_i32_f32_e32 v97, v97
	v_fmac_f32_e32 v104, 0x32a5705f, v65
	v_fmac_f32_e32 v100, 0x32a5705f, v63
	v_ldexp_f32 v33, v33, v89
	v_fmac_f32_e32 v102, 0x32a5705f, v64
	v_dual_sub_f32 v82, v82, v109 :: v_dual_add_f32 v76, v77, v98
	v_sub_f32_e32 v84, v84, v113
	v_fmac_f32_e32 v116, 0x32a5705f, v71
	v_sub_f32_e32 v86, v86, v117
	v_dual_fmac_f32 v112, 0x32a5705f, v69 :: v_dual_add_f32 v77, v78, v100
	v_add_f32_e32 v78, v79, v102
	v_fmac_f32_e32 v108, 0x32a5705f, v67
	v_fmac_f32_e32 v106, 0x32a5705f, v66
	v_ldexp_f32 v75, v75, v97
	v_fmac_f32_e32 v110, 0x32a5705f, v68
	v_add_f32_e32 v79, v80, v104
	v_exp_f32_e32 v77, v77
	v_dual_add_f32 v80, v81, v106 :: v_dual_add_f32 v81, v82, v108
	s_delay_alu instid0(VALU_DEP_3)
	v_add_f32_e32 v82, v83, v110
	v_exp_f32_e32 v16, v16
	v_cvt_i32_f32_e32 v87, v87
	v_cvt_i32_f32_e32 v101, v101
	v_cmp_ngt_f32_e32 vcc_lo, 0xc2ce8ed0, v32
	v_add_f32_e32 v83, v84, v112
	v_exp_f32_e32 v72, v72
	v_cvt_i32_f32_e32 v91, v91
	v_ldexp_f32 v16, v16, v87
	v_ldexp_f32 v77, v77, v101
	v_fmac_f32_e32 v114, 0x32a5705f, v70
	v_exp_f32_e32 v73, v73
	v_cvt_i32_f32_e32 v93, v93
	v_ldexp_f32 v72, v72, v91
	v_exp_f32_e32 v74, v74
	v_dual_add_f32 v84, v85, v114 :: v_dual_add_f32 v85, v86, v116
	v_cndmask_b32_e32 v86, 0, v16, vcc_lo
	v_cmp_ngt_f32_e32 vcc_lo, 0xc2ce8ed0, v58
	v_ldexp_f32 v73, v73, v93
	v_cvt_i32_f32_e32 v95, v95
	v_exp_f32_e32 v76, v76
	v_cvt_i32_f32_e32 v99, v99
	v_cndmask_b32_e32 v33, 0, v33, vcc_lo
	v_cmp_nlt_f32_e32 vcc_lo, 0x42b17218, v32
	v_ldexp_f32 v74, v74, v95
	v_exp_f32_e32 v78, v78
	v_cvt_i32_f32_e32 v103, v103
	v_ldexp_f32 v76, v76, v99
	v_exp_f32_e32 v79, v79
	v_cvt_i32_f32_e32 v105, v105
	v_exp_f32_e32 v80, v80
	v_cvt_i32_f32_e32 v107, v107
	v_ldexp_f32 v78, v78, v103
	v_exp_f32_e32 v81, v81
	v_cvt_i32_f32_e32 v109, v109
	v_ldexp_f32 v79, v79, v105
	v_exp_f32_e32 v82, v82
	v_ldexp_f32 v80, v80, v107
	v_cvt_i32_f32_e32 v111, v111
	v_exp_f32_e32 v83, v83
	v_ldexp_f32 v81, v81, v109
	v_cvt_i32_f32_e32 v113, v113
	;; [unrolled: 3-line block ×4, first 2 shown]
	s_add_nc_u64 s[2:3], s[18:19], s[4:5]
	v_ldexp_f32 v84, v84, v115
	s_mul_i32 s4, s21, s34
	s_mov_b32 s5, 0
	v_ldexp_f32 v85, v85, v117
	s_wait_loadcnt 0x0
	v_mul_f32_e32 v16, v22, v23
	v_cndmask_b32_e32 v22, 0x7f800000, v86, vcc_lo
	v_cmp_nlt_f32_e32 vcc_lo, 0x42b17218, v58
	v_cndmask_b32_e32 v23, 0x7f800000, v33, vcc_lo
	v_cmp_ngt_f32_e32 vcc_lo, 0xc2ce8ed0, v59
	s_wait_dscnt 0x3
	v_pk_mul_f32 v[32:33], v[16:17], v[36:37] op_sel_hi:[0,1]
	v_cndmask_b32_e32 v58, 0, v72, vcc_lo
	v_cmp_ngt_f32_e32 vcc_lo, 0xc2ce8ed0, v17
	s_delay_alu instid0(VALU_DEP_3) | instskip(SKIP_3) | instid1(VALU_DEP_4)
	v_pk_fma_f32 v[36:37], v[52:53], v[22:23], v[32:33]
	v_pk_mul_f32 v[32:33], v[16:17], v[38:39] op_sel_hi:[0,1]
	v_cndmask_b32_e32 v72, 0, v73, vcc_lo
	v_cmp_nlt_f32_e32 vcc_lo, 0x42b17218, v59
	v_fma_f32 v52, v0, v36, 0
	v_cndmask_b32_e32 v22, 0x7f800000, v58, vcc_lo
	v_cmp_nlt_f32_e32 vcc_lo, 0x42b17218, v17
	s_delay_alu instid0(VALU_DEP_3) | instskip(SKIP_1) | instid1(VALU_DEP_2)
	v_dual_fmac_f32 v52, v1, v37 :: v_dual_cndmask_b32 v23, 0x7f800000, v72
	v_cmp_ngt_f32_e32 vcc_lo, 0xc2ce8ed0, v60
	v_pk_fma_f32 v[38:39], v[50:51], v[22:23], v[32:33]
	v_cndmask_b32_e32 v0, 0, v74, vcc_lo
	v_cmp_ngt_f32_e32 vcc_lo, 0xc2ce8ed0, v61
	s_delay_alu instid0(VALU_DEP_3) | instskip(SKIP_2) | instid1(VALU_DEP_2)
	v_dual_fmac_f32 v52, v2, v38 :: v_dual_cndmask_b32 v17, 0, v75
	v_cmp_nlt_f32_e32 vcc_lo, 0x42b17218, v60
	s_wait_dscnt 0x2
	v_pk_mul_f32 v[22:23], v[16:17], v[40:41] op_sel_hi:[0,1]
	v_cndmask_b32_e32 v0, 0x7f800000, v0, vcc_lo
	v_cmp_nlt_f32_e32 vcc_lo, 0x42b17218, v61
	v_cndmask_b32_e32 v1, 0x7f800000, v17, vcc_lo
	v_cmp_ngt_f32_e32 vcc_lo, 0xc2ce8ed0, v62
	s_delay_alu instid0(VALU_DEP_2) | instskip(SKIP_4) | instid1(VALU_DEP_2)
	v_pk_fma_f32 v[0:1], v[48:49], v[0:1], v[22:23]
	v_cndmask_b32_e32 v2, 0, v76, vcc_lo
	v_cmp_ngt_f32_e32 vcc_lo, 0xc2ce8ed0, v63
	v_cndmask_b32_e32 v17, 0, v77, vcc_lo
	v_cmp_nlt_f32_e32 vcc_lo, 0x42b17218, v62
	v_pk_mul_f32 v[22:23], v[16:17], v[42:43] op_sel_hi:[0,1]
	v_cndmask_b32_e32 v2, 0x7f800000, v2, vcc_lo
	v_cmp_nlt_f32_e32 vcc_lo, 0x42b17218, v63
	v_dual_fmac_f32 v52, v3, v39 :: v_dual_cndmask_b32 v3, 0x7f800000, v17
	v_cmp_ngt_f32_e32 vcc_lo, 0xc2ce8ed0, v64
	s_delay_alu instid0(VALU_DEP_2) | instskip(NEXT) | instid1(VALU_DEP_3)
	v_fmac_f32_e32 v52, v4, v0
	v_pk_fma_f32 v[2:3], v[30:31], v[2:3], v[22:23]
	v_cndmask_b32_e32 v4, 0, v78, vcc_lo
	v_cmp_ngt_f32_e32 vcc_lo, 0xc2ce8ed0, v65
	s_delay_alu instid0(VALU_DEP_4) | instskip(SKIP_1) | instid1(VALU_DEP_2)
	v_dual_fmac_f32 v52, v5, v1 :: v_dual_cndmask_b32 v17, 0, v79
	v_cmp_nlt_f32_e32 vcc_lo, 0x42b17218, v64
	v_fmac_f32_e32 v52, v6, v2
	s_wait_dscnt 0x1
	s_delay_alu instid0(VALU_DEP_3) | instskip(SKIP_4) | instid1(VALU_DEP_2)
	v_pk_mul_f32 v[22:23], v[16:17], v[44:45] op_sel_hi:[0,1]
	v_cndmask_b32_e32 v4, 0x7f800000, v4, vcc_lo
	v_cmp_nlt_f32_e32 vcc_lo, 0x42b17218, v65
	v_dual_fmac_f32 v52, v7, v3 :: v_dual_cndmask_b32 v5, 0x7f800000, v17
	v_cmp_ngt_f32_e32 vcc_lo, 0xc2ce8ed0, v66
	v_pk_fma_f32 v[4:5], v[26:27], v[4:5], v[22:23]
	v_cndmask_b32_e32 v6, 0, v80, vcc_lo
	v_cmp_ngt_f32_e32 vcc_lo, 0xc2ce8ed0, v67
	s_delay_alu instid0(VALU_DEP_3) | instskip(SKIP_1) | instid1(VALU_DEP_2)
	v_dual_fmac_f32 v52, v8, v4 :: v_dual_cndmask_b32 v17, 0, v81
	v_cmp_nlt_f32_e32 vcc_lo, 0x42b17218, v66
	v_fmac_f32_e32 v52, v9, v5
	s_delay_alu instid0(VALU_DEP_3) | instskip(SKIP_4) | instid1(VALU_DEP_2)
	v_pk_mul_f32 v[22:23], v[16:17], v[46:47] op_sel_hi:[0,1]
	v_cndmask_b32_e32 v6, 0x7f800000, v6, vcc_lo
	v_cmp_nlt_f32_e32 vcc_lo, 0x42b17218, v67
	v_cndmask_b32_e32 v7, 0x7f800000, v17, vcc_lo
	v_cmp_ngt_f32_e32 vcc_lo, 0xc2ce8ed0, v68
	v_pk_fma_f32 v[6:7], v[28:29], v[6:7], v[22:23]
	v_cndmask_b32_e32 v8, 0, v82, vcc_lo
	v_cmp_ngt_f32_e32 vcc_lo, 0xc2ce8ed0, v69
	s_delay_alu instid0(VALU_DEP_3) | instskip(SKIP_1) | instid1(VALU_DEP_2)
	v_dual_fmac_f32 v52, v10, v6 :: v_dual_cndmask_b32 v17, 0, v83
	v_cmp_nlt_f32_e32 vcc_lo, 0x42b17218, v68
	v_fmac_f32_e32 v52, v11, v7
	s_wait_dscnt 0x0
	s_delay_alu instid0(VALU_DEP_3) | instskip(SKIP_4) | instid1(VALU_DEP_2)
	v_pk_mul_f32 v[22:23], v[16:17], v[54:55] op_sel_hi:[0,1]
	v_cndmask_b32_e32 v8, 0x7f800000, v8, vcc_lo
	v_cmp_nlt_f32_e32 vcc_lo, 0x42b17218, v69
	v_cndmask_b32_e32 v9, 0x7f800000, v17, vcc_lo
	v_cmp_ngt_f32_e32 vcc_lo, 0xc2ce8ed0, v70
	v_pk_fma_f32 v[8:9], v[24:25], v[8:9], v[22:23]
	v_cndmask_b32_e32 v10, 0, v84, vcc_lo
	v_cmp_ngt_f32_e32 vcc_lo, 0xc2ce8ed0, v71
	s_delay_alu instid0(VALU_DEP_3) | instskip(SKIP_1) | instid1(VALU_DEP_2)
	v_dual_fmac_f32 v52, v12, v8 :: v_dual_cndmask_b32 v17, 0, v85
	v_cmp_nlt_f32_e32 vcc_lo, 0x42b17218, v70
	v_fmac_f32_e32 v52, v13, v9
	v_add_nc_u64_e32 v[12:13], s[0:1], v[18:19]
	s_add_nc_u64 s[0:1], s[2:3], s[4:5]
	v_cndmask_b32_e32 v10, 0x7f800000, v10, vcc_lo
	v_cmp_nlt_f32_e32 vcc_lo, 0x42b17218, v71
	s_add_nc_u64 s[0:1], s[0:1], s[10:11]
	v_cndmask_b32_e32 v11, 0x7f800000, v17, vcc_lo
	v_pk_mul_f32 v[16:17], v[16:17], v[56:57] op_sel_hi:[0,1]
	s_delay_alu instid0(VALU_DEP_1) | instskip(NEXT) | instid1(VALU_DEP_1)
	v_pk_fma_f32 v[10:11], v[20:21], v[10:11], v[16:17]
	v_fmac_f32_e32 v52, v14, v10
	s_delay_alu instid0(VALU_DEP_1)
	v_fmac_f32_e32 v52, v15, v11
	v_lshl_add_u64 v[14:15], v[34:35], 2, s[0:1]
	global_store_b32 v[12:13], v52, off
	s_wait_storecnt 0x0
	s_barrier_signal -1
	s_barrier_wait -1
	s_clause 0x3
	global_store_b128 v[14:15], v[36:39], off
	global_store_b128 v[14:15], v[0:3], off offset:16
	global_store_b128 v[14:15], v[4:7], off offset:32
	;; [unrolled: 1-line block ×3, first 2 shown]
	s_sendmsg sendmsg(MSG_DEALLOC_VGPRS)
	s_endpgm
	.section	.rodata,"a",@progbits
	.p2align	6, 0x0
	.amdhsa_kernel _Z12ssm_scan_f32ILm128ELm16ELm8EEvPKfS1_S1_S1_S1_S1_PKiPfiiiiiiiiiiilll
		.amdhsa_group_segment_fixed_size 128
		.amdhsa_private_segment_fixed_size 0
		.amdhsa_kernarg_size 136
		.amdhsa_user_sgpr_count 2
		.amdhsa_user_sgpr_dispatch_ptr 0
		.amdhsa_user_sgpr_queue_ptr 0
		.amdhsa_user_sgpr_kernarg_segment_ptr 1
		.amdhsa_user_sgpr_dispatch_id 0
		.amdhsa_user_sgpr_kernarg_preload_length 0
		.amdhsa_user_sgpr_kernarg_preload_offset 0
		.amdhsa_user_sgpr_private_segment_size 0
		.amdhsa_wavefront_size32 1
		.amdhsa_uses_dynamic_stack 0
		.amdhsa_enable_private_segment 0
		.amdhsa_system_sgpr_workgroup_id_x 1
		.amdhsa_system_sgpr_workgroup_id_y 1
		.amdhsa_system_sgpr_workgroup_id_z 0
		.amdhsa_system_sgpr_workgroup_info 0
		.amdhsa_system_vgpr_workitem_id 0
		.amdhsa_next_free_vgpr 144
		.amdhsa_next_free_sgpr 36
		.amdhsa_named_barrier_count 0
		.amdhsa_reserve_vcc 1
		.amdhsa_float_round_mode_32 0
		.amdhsa_float_round_mode_16_64 0
		.amdhsa_float_denorm_mode_32 3
		.amdhsa_float_denorm_mode_16_64 3
		.amdhsa_fp16_overflow 0
		.amdhsa_memory_ordered 1
		.amdhsa_forward_progress 1
		.amdhsa_inst_pref_size 204
		.amdhsa_round_robin_scheduling 0
		.amdhsa_exception_fp_ieee_invalid_op 0
		.amdhsa_exception_fp_denorm_src 0
		.amdhsa_exception_fp_ieee_div_zero 0
		.amdhsa_exception_fp_ieee_overflow 0
		.amdhsa_exception_fp_ieee_underflow 0
		.amdhsa_exception_fp_ieee_inexact 0
		.amdhsa_exception_int_div_zero 0
	.end_amdhsa_kernel
	.section	.text._Z12ssm_scan_f32ILm128ELm16ELm8EEvPKfS1_S1_S1_S1_S1_PKiPfiiiiiiiiiiilll,"axG",@progbits,_Z12ssm_scan_f32ILm128ELm16ELm8EEvPKfS1_S1_S1_S1_S1_PKiPfiiiiiiiiiiilll,comdat
.Lfunc_end9:
	.size	_Z12ssm_scan_f32ILm128ELm16ELm8EEvPKfS1_S1_S1_S1_S1_PKiPfiiiiiiiiiiilll, .Lfunc_end9-_Z12ssm_scan_f32ILm128ELm16ELm8EEvPKfS1_S1_S1_S1_S1_PKiPfiiiiiiiiiiilll
                                        ; -- End function
	.set _Z12ssm_scan_f32ILm128ELm16ELm8EEvPKfS1_S1_S1_S1_S1_PKiPfiiiiiiiiiiilll.num_vgpr, 144
	.set _Z12ssm_scan_f32ILm128ELm16ELm8EEvPKfS1_S1_S1_S1_S1_PKiPfiiiiiiiiiiilll.num_agpr, 0
	.set _Z12ssm_scan_f32ILm128ELm16ELm8EEvPKfS1_S1_S1_S1_S1_PKiPfiiiiiiiiiiilll.numbered_sgpr, 36
	.set _Z12ssm_scan_f32ILm128ELm16ELm8EEvPKfS1_S1_S1_S1_S1_PKiPfiiiiiiiiiiilll.num_named_barrier, 0
	.set _Z12ssm_scan_f32ILm128ELm16ELm8EEvPKfS1_S1_S1_S1_S1_PKiPfiiiiiiiiiiilll.private_seg_size, 0
	.set _Z12ssm_scan_f32ILm128ELm16ELm8EEvPKfS1_S1_S1_S1_S1_PKiPfiiiiiiiiiiilll.uses_vcc, 1
	.set _Z12ssm_scan_f32ILm128ELm16ELm8EEvPKfS1_S1_S1_S1_S1_PKiPfiiiiiiiiiiilll.uses_flat_scratch, 0
	.set _Z12ssm_scan_f32ILm128ELm16ELm8EEvPKfS1_S1_S1_S1_S1_PKiPfiiiiiiiiiiilll.has_dyn_sized_stack, 0
	.set _Z12ssm_scan_f32ILm128ELm16ELm8EEvPKfS1_S1_S1_S1_S1_PKiPfiiiiiiiiiiilll.has_recursion, 0
	.set _Z12ssm_scan_f32ILm128ELm16ELm8EEvPKfS1_S1_S1_S1_S1_PKiPfiiiiiiiiiiilll.has_indirect_call, 0
	.section	.AMDGPU.csdata,"",@progbits
; Kernel info:
; codeLenInByte = 26032
; TotalNumSgprs: 38
; NumVgprs: 144
; ScratchSize: 0
; MemoryBound: 0
; FloatMode: 240
; IeeeMode: 1
; LDSByteSize: 128 bytes/workgroup (compile time only)
; SGPRBlocks: 0
; VGPRBlocks: 8
; NumSGPRsForWavesPerEU: 38
; NumVGPRsForWavesPerEU: 144
; NamedBarCnt: 0
; Occupancy: 7
; WaveLimiterHint : 1
; COMPUTE_PGM_RSRC2:SCRATCH_EN: 0
; COMPUTE_PGM_RSRC2:USER_SGPR: 2
; COMPUTE_PGM_RSRC2:TRAP_HANDLER: 0
; COMPUTE_PGM_RSRC2:TGID_X_EN: 1
; COMPUTE_PGM_RSRC2:TGID_Y_EN: 1
; COMPUTE_PGM_RSRC2:TGID_Z_EN: 0
; COMPUTE_PGM_RSRC2:TIDIG_COMP_CNT: 0
	.section	.text._Z12ssm_scan_f32ILm128ELm16ELm0EEvPKfS1_S1_S1_S1_S1_PKiPfiiiiiiiiiiilll,"axG",@progbits,_Z12ssm_scan_f32ILm128ELm16ELm0EEvPKfS1_S1_S1_S1_S1_PKiPfiiiiiiiiiiilll,comdat
	.protected	_Z12ssm_scan_f32ILm128ELm16ELm0EEvPKfS1_S1_S1_S1_S1_PKiPfiiiiiiiiiiilll ; -- Begin function _Z12ssm_scan_f32ILm128ELm16ELm0EEvPKfS1_S1_S1_S1_S1_PKiPfiiiiiiiiiiilll
	.globl	_Z12ssm_scan_f32ILm128ELm16ELm0EEvPKfS1_S1_S1_S1_S1_PKiPfiiiiiiiiiiilll
	.p2align	8
	.type	_Z12ssm_scan_f32ILm128ELm16ELm0EEvPKfS1_S1_S1_S1_S1_PKiPfiiiiiiiiiiilll,@function
_Z12ssm_scan_f32ILm128ELm16ELm0EEvPKfS1_S1_S1_S1_S1_PKiPfiiiiiiiiiiilll: ; @_Z12ssm_scan_f32ILm128ELm16ELm0EEvPKfS1_S1_S1_S1_S1_PKiPfiiiiiiiiiiilll
; %bb.0:
	s_load_b512 s[4:19], s[0:1], 0x0
	s_bfe_u32 s3, ttmp6, 0x4000c
	s_bfe_u32 s28, ttmp6, 0x40010
	s_add_co_i32 s3, s3, 1
	s_add_co_i32 s28, s28, 1
	s_and_b32 s2, ttmp6, 15
	s_bfe_u32 s29, ttmp6, 0x40004
	s_mul_i32 s3, ttmp9, s3
	s_mul_i32 s28, ttmp7, s28
	s_getreg_b32 s30, hwreg(HW_REG_IB_STS2, 6, 4)
	s_load_b256 s[20:27], s[0:1], 0x40
	s_add_co_i32 s2, s2, s3
	s_add_co_i32 s29, s29, s28
	s_cmp_eq_u32 s30, 0
	s_mov_b32 s3, 0
	s_cselect_b32 s2, ttmp9, s2
	s_cselect_b32 s34, ttmp7, s29
	s_mov_b32 s35, s3
	v_mov_b32_e32 v35, 0
	s_lshl_b64 s[36:37], s[34:35], 7
	s_wait_kmcnt 0x0
	s_load_b32 s16, s[16:17], s2 offset:0x0 scale_offset
	s_wait_xcnt 0x0
	s_ashr_i32 s17, s20, 2
	s_delay_alu instid0(SALU_CYCLE_1)
	v_mul_lo_u32 v34, s17, v0
	s_ashr_i32 s17, s20, 31
	s_wait_kmcnt 0x0
	s_mul_i32 s28, s16, s21
	s_mov_b32 s16, s20
	s_ashr_i32 s29, s28, 31
	s_mul_u64 s[16:17], s[36:37], s[16:17]
	s_add_nc_u64 s[4:5], s[4:5], s[28:29]
	s_delay_alu instid0(SALU_CYCLE_1)
	s_add_nc_u64 s[4:5], s[4:5], s[16:17]
	s_delay_alu instid0(VALU_DEP_1) | instid1(SALU_CYCLE_1)
	v_lshl_add_u64 v[18:19], v[34:35], 2, s[4:5]
	s_clause 0x3
	global_load_b128 v[14:17], v[18:19], off
	global_load_b128 v[10:13], v[18:19], off offset:16
	global_load_b128 v[6:9], v[18:19], off offset:32
	;; [unrolled: 1-line block ×3, first 2 shown]
	s_clause 0x1
	s_load_b64 s[4:5], s[0:1], 0x80
	s_load_b128 s[28:31], s[0:1], 0x70
	s_wait_kmcnt 0x0
	s_cmp_eq_u64 s[4:5], 0
	s_cbranch_scc1 .LBB10_7
; %bb.1:
	s_ashr_i32 s20, s26, 2
	s_ashr_i32 s39, s26, 31
	v_mul_lo_u32 v18, s20, v0
	s_mov_b32 s38, s26
	v_mov_b32_e32 v19, v35
	s_mul_u64 s[36:37], s[36:37], s[38:39]
	v_cmp_gt_u32_e32 vcc_lo, 16, v0
	s_add_nc_u64 s[10:11], s[10:11], s[36:37]
	s_load_b96 s[36:38], s[0:1], 0x60
	s_wait_xcnt 0x0
	s_mul_u64 s[0:1], s[2:3], s[30:31]
	s_ashr_i32 s24, s24, 2
	s_mul_u64 s[0:1], s[0:1], s[4:5]
	v_mov_b32_e32 v46, 0x3f317218
	v_lshl_add_u64 v[36:37], v[18:19], 2, s[10:11]
	s_lshl_b64 s[10:11], s[34:35], 9
	s_mov_b32 s35, s3
	s_lshl_b64 s[0:1], s[0:1], 2
	s_clause 0x3
	global_load_b128 v[18:21], v[36:37], off
	global_load_b128 v[22:25], v[36:37], off offset:16
	global_load_b128 v[26:29], v[36:37], off offset:32
	;; [unrolled: 1-line block ×3, first 2 shown]
	s_wait_xcnt 0x0
	v_dual_mov_b32 v37, v35 :: v_dual_lshlrev_b32 v36, 2, v0
	s_add_nc_u64 s[0:1], s[18:19], s[0:1]
	s_delay_alu instid0(SALU_CYCLE_1) | instskip(NEXT) | instid1(VALU_DEP_1)
	s_add_nc_u64 s[0:1], s[0:1], s[10:11]
	v_add_nc_u32_e32 v48, 64, v36
	s_delay_alu instid0(VALU_DEP_2)
	v_add_nc_u64_e32 v[44:45], s[0:1], v[36:37]
	s_wait_kmcnt 0x0
	s_ashr_i32 s26, s37, 2
	s_mul_i32 s34, s38, s2
	s_mul_i32 s36, s36, s2
	s_mov_b32 s37, s3
	s_add_nc_u64 s[14:15], s[14:15], s[34:35]
	s_add_nc_u64 s[12:13], s[12:13], s[36:37]
	s_mul_i32 s34, s25, s2
	s_mul_i32 s36, s23, s2
	s_add_nc_u64 s[8:9], s[8:9], s[34:35]
	s_add_nc_u64 s[6:7], s[6:7], s[36:37]
	;; [unrolled: 1-line block ×4, first 2 shown]
	v_add_nc_u64_e32 v[0:1], s[12:13], v[36:37]
	v_add_nc_u64_e32 v[38:39], s[14:15], v[36:37]
	v_add_nc_u64_e32 v[40:41], s[8:9], v[36:37]
	v_add_nc_u64_e32 v[42:43], s[6:7], v[36:37]
	s_ashr_i32 s34, s27, 2
	s_ashr_i32 s10, s22, 2
	;; [unrolled: 1-line block ×6, first 2 shown]
	s_bfe_i64 s[6:7], s[30:31], 0x200000
	s_lshl_b64 s[8:9], s[10:11], 2
	s_lshl_b64 s[6:7], s[6:7], 2
	;; [unrolled: 1-line block ×5, first 2 shown]
	s_mov_b32 s3, 0x3e9b6dac
	s_branch .LBB10_3
.LBB10_2:                               ;   in Loop: Header=BB10_3 Depth=1
	s_or_b32 exec_lo, exec_lo, s1
	global_load_b32 v47, v[42:43], off
	v_dual_mul_f32 v49, v37, v18 :: v_dual_mul_f32 v59, v37, v19
	s_wait_xcnt 0x0
	v_add_nc_u64_e32 v[42:43], s[8:9], v[42:43]
	v_add_nc_u64_e32 v[40:41], s[10:11], v[40:41]
	;; [unrolled: 1-line block ×3, first 2 shown]
	v_dual_mul_f32 v50, 0x3fb8aa3b, v49 :: v_dual_mul_f32 v51, 0x3fb8aa3b, v59
	v_cmp_ngt_f32_e64 s0, 0xc2ce8ed0, v49
	v_add_nc_u64_e32 v[0:1], s[14:15], v[0:1]
	s_add_nc_u64 s[4:5], s[4:5], -1
	v_fma_f32 v52, 0x3fb8aa3b, v49, -v50
	v_rndne_f32_e32 v54, v50
	v_fma_f32 v53, 0x3fb8aa3b, v59, -v51
	v_rndne_f32_e32 v55, v51
	s_cmp_eq_u64 s[4:5], 0
	v_fmac_f32_e32 v52, 0x32a5705f, v49
	s_delay_alu instid0(VALU_DEP_3) | instskip(NEXT) | instid1(VALU_DEP_3)
	v_dual_sub_f32 v50, v50, v54 :: v_dual_fmac_f32 v53, 0x32a5705f, v59
	v_sub_f32_e32 v51, v51, v55
	v_cvt_i32_f32_e32 v54, v54
	v_cvt_i32_f32_e32 v55, v55
	s_delay_alu instid0(VALU_DEP_3) | instskip(SKIP_3) | instid1(TRANS32_DEP_2)
	v_dual_add_f32 v56, v50, v52 :: v_dual_add_f32 v57, v51, v53
	ds_load_b128 v[50:53], v35
	v_exp_f32_e32 v56, v56
	v_exp_f32_e32 v57, v57
	v_ldexp_f32 v58, v56, v54
	s_delay_alu instid0(TRANS32_DEP_1) | instskip(SKIP_3) | instid1(VALU_DEP_1)
	v_ldexp_f32 v60, v57, v55
	ds_load_b128 v[54:57], v35 offset:16
	v_cndmask_b32_e64 v61, 0, v58, s0
	v_cmp_ngt_f32_e64 s0, 0xc2ce8ed0, v59
	v_cndmask_b32_e64 v62, 0, v60, s0
	v_cmp_nlt_f32_e64 s0, 0x42b17218, v49
	s_delay_alu instid0(VALU_DEP_1) | instskip(SKIP_1) | instid1(VALU_DEP_1)
	v_cndmask_b32_e64 v60, 0x7f800000, v61, s0
	v_cmp_nlt_f32_e64 s0, 0x42b17218, v59
	v_cndmask_b32_e64 v61, 0x7f800000, v62, s0
	s_wait_loadcnt 0x0
	v_dual_mul_f32 v58, v37, v47 :: v_dual_mul_f32 v47, v37, v20
	s_wait_dscnt 0x1
	s_delay_alu instid0(VALU_DEP_1) | instskip(NEXT) | instid1(VALU_DEP_2)
	v_pk_mul_f32 v[50:51], v[58:59], v[50:51] op_sel_hi:[0,1]
	v_mul_f32_e32 v49, 0x3fb8aa3b, v47
	v_cmp_ngt_f32_e64 s0, 0xc2ce8ed0, v47
	v_cmp_nlt_f32_e64 s1, 0x42b17218, v47
	v_mul_f32_e32 v59, v37, v21
	v_pk_fma_f32 v[14:15], v[14:15], v[60:61], v[50:51]
	v_fma_f32 v50, 0x3fb8aa3b, v47, -v49
	v_rndne_f32_e32 v51, v49
	s_delay_alu instid0(VALU_DEP_2) | instskip(NEXT) | instid1(VALU_DEP_2)
	v_fmac_f32_e32 v50, 0x32a5705f, v47
	v_sub_f32_e32 v49, v49, v51
	v_cvt_i32_f32_e32 v51, v51
	s_delay_alu instid0(VALU_DEP_2) | instskip(NEXT) | instid1(VALU_DEP_1)
	v_dual_add_f32 v49, v49, v50 :: v_dual_mul_f32 v50, 0x3fb8aa3b, v59
	v_exp_f32_e32 v49, v49
	s_delay_alu instid0(VALU_DEP_1) | instskip(SKIP_1) | instid1(VALU_DEP_2)
	v_fma_f32 v60, 0x3fb8aa3b, v59, -v50
	v_rndne_f32_e32 v61, v50
	v_fmac_f32_e32 v60, 0x32a5705f, v59
	s_delay_alu instid0(VALU_DEP_2) | instskip(NEXT) | instid1(TRANS32_DEP_1)
	v_sub_f32_e32 v50, v50, v61
	v_ldexp_f32 v49, v49, v51
	v_cvt_i32_f32_e32 v51, v61
	s_delay_alu instid0(VALU_DEP_3) | instskip(NEXT) | instid1(VALU_DEP_3)
	v_dual_add_f32 v50, v50, v60 :: v_dual_mul_f32 v60, v37, v22
	v_cndmask_b32_e64 v49, 0, v49, s0
	v_cmp_ngt_f32_e64 s0, 0xc2ce8ed0, v59
	s_delay_alu instid0(VALU_DEP_3) | instskip(NEXT) | instid1(VALU_DEP_3)
	v_exp_f32_e32 v50, v50
	v_mul_f32_e32 v47, 0x3fb8aa3b, v60
	s_delay_alu instid0(VALU_DEP_1) | instskip(NEXT) | instid1(TRANS32_DEP_1)
	v_fma_f32 v61, 0x3fb8aa3b, v60, -v47
	v_ldexp_f32 v50, v50, v51
	s_delay_alu instid0(VALU_DEP_1) | instskip(SKIP_4) | instid1(VALU_DEP_4)
	v_cndmask_b32_e64 v51, 0, v50, s0
	v_cmp_nlt_f32_e64 s0, 0x42b17218, v59
	v_mul_f32_e32 v59, v37, v23
	v_cndmask_b32_e64 v50, 0x7f800000, v49, s1
	v_cmp_ngt_f32_e64 s1, 0xc2ce8ed0, v60
	v_cndmask_b32_e64 v51, 0x7f800000, v51, s0
	s_delay_alu instid0(VALU_DEP_4) | instskip(SKIP_2) | instid1(VALU_DEP_3)
	v_pk_mul_f32 v[52:53], v[58:59], v[52:53] op_sel_hi:[0,1]
	v_mul_f32_e32 v49, 0x3fb8aa3b, v59
	v_cmp_ngt_f32_e64 s0, 0xc2ce8ed0, v59
	v_pk_fma_f32 v[16:17], v[16:17], v[50:51], v[52:53]
	s_delay_alu instid0(VALU_DEP_3)
	v_fma_f32 v52, 0x3fb8aa3b, v59, -v49
	v_rndne_f32_e32 v53, v47
	s_wait_dscnt 0x0
	v_pk_mul_f32 v[50:51], v[58:59], v[54:55] op_sel_hi:[0,1]
	v_pk_mul_f32 v[54:55], v[58:59], v[56:57] op_sel_hi:[0,1]
	v_rndne_f32_e32 v56, v49
	v_dual_fmac_f32 v61, 0x32a5705f, v60 :: v_dual_fmac_f32 v52, 0x32a5705f, v59
	v_dual_sub_f32 v47, v47, v53 :: v_dual_mul_f32 v57, v37, v24
	v_cvt_i32_f32_e32 v53, v53
	s_delay_alu instid0(VALU_DEP_2) | instskip(NEXT) | instid1(VALU_DEP_3)
	v_dual_add_f32 v47, v47, v61 :: v_dual_sub_f32 v49, v49, v56
	v_mul_f32_e32 v61, 0x3fb8aa3b, v57
	s_delay_alu instid0(VALU_DEP_2) | instskip(NEXT) | instid1(VALU_DEP_2)
	v_exp_f32_e32 v47, v47
	v_add_f32_e32 v49, v49, v52
	s_delay_alu instid0(VALU_DEP_2) | instskip(SKIP_1) | instid1(VALU_DEP_1)
	v_fma_f32 v52, 0x3fb8aa3b, v57, -v61
	v_rndne_f32_e32 v62, v61
	v_dual_fmac_f32 v52, 0x32a5705f, v57 :: v_dual_sub_f32 v61, v61, v62
	s_delay_alu instid0(TRANS32_DEP_1) | instskip(SKIP_1) | instid1(VALU_DEP_3)
	v_ldexp_f32 v47, v47, v53
	v_cvt_i32_f32_e32 v53, v56
	v_add_f32_e32 v52, v61, v52
	s_delay_alu instid0(VALU_DEP_3) | instskip(SKIP_1) | instid1(VALU_DEP_3)
	v_dual_mul_f32 v61, v37, v25 :: v_dual_cndmask_b32 v47, 0, v47, s1
	v_cmp_nlt_f32_e64 s1, 0x42b17218, v60
	v_exp_f32_e32 v52, v52
	s_delay_alu instid0(VALU_DEP_2) | instskip(NEXT) | instid1(VALU_DEP_1)
	v_mul_f32_e32 v63, 0x3fb8aa3b, v61
	v_fma_f32 v64, 0x3fb8aa3b, v61, -v63
	v_rndne_f32_e32 v65, v63
	s_delay_alu instid0(VALU_DEP_2) | instskip(NEXT) | instid1(VALU_DEP_2)
	v_fmac_f32_e32 v64, 0x32a5705f, v61
	v_sub_f32_e32 v63, v63, v65
	v_exp_f32_e32 v49, v49
	s_delay_alu instid0(VALU_DEP_1) | instskip(NEXT) | instid1(TRANS32_DEP_1)
	v_dual_add_f32 v63, v63, v64 :: v_dual_mul_f32 v64, v37, v26
	v_ldexp_f32 v49, v49, v53
	v_cvt_i32_f32_e32 v53, v62
	s_delay_alu instid0(VALU_DEP_3) | instskip(NEXT) | instid1(VALU_DEP_3)
	v_mul_f32_e32 v66, 0x3fb8aa3b, v64
	v_cndmask_b32_e64 v49, 0, v49, s0
	s_delay_alu instid0(VALU_DEP_3) | instskip(SKIP_1) | instid1(VALU_DEP_3)
	v_ldexp_f32 v56, v52, v53
	v_exp_f32_e32 v52, v63
	v_fma_f32 v67, 0x3fb8aa3b, v64, -v66
	v_rndne_f32_e32 v68, v66
	v_cvt_i32_f32_e32 v53, v65
	v_cmp_nlt_f32_e64 s0, 0x42b17218, v59
	s_delay_alu instid0(VALU_DEP_4) | instskip(NEXT) | instid1(VALU_DEP_4)
	v_fmac_f32_e32 v67, 0x32a5705f, v64
	v_sub_f32_e32 v66, v66, v68
	s_delay_alu instid0(VALU_DEP_4) | instskip(SKIP_1) | instid1(VALU_DEP_3)
	v_ldexp_f32 v62, v52, v53
	v_cvt_i32_f32_e32 v53, v68
	v_add_f32_e32 v66, v66, v67
	v_mul_f32_e32 v67, v37, v27
	s_delay_alu instid0(VALU_DEP_1) | instskip(NEXT) | instid1(VALU_DEP_3)
	v_mul_f32_e32 v69, 0x3fb8aa3b, v67
	v_exp_f32_e32 v52, v66
	s_delay_alu instid0(VALU_DEP_1) | instskip(SKIP_1) | instid1(TRANS32_DEP_1)
	v_fma_f32 v70, 0x3fb8aa3b, v67, -v69
	v_rndne_f32_e32 v71, v69
	v_ldexp_f32 v63, v52, v53
	v_cndmask_b32_e64 v53, 0x7f800000, v49, s0
	s_delay_alu instid0(VALU_DEP_4)
	v_fmac_f32_e32 v70, 0x32a5705f, v67
	v_cmp_ngt_f32_e64 s0, 0xc2ce8ed0, v61
	v_sub_f32_e32 v69, v69, v71
	v_cndmask_b32_e64 v52, 0x7f800000, v47, s1
	v_cvt_i32_f32_e32 v49, v71
	v_cmp_ngt_f32_e64 s1, 0xc2ce8ed0, v57
	s_delay_alu instid0(VALU_DEP_4) | instskip(NEXT) | instid1(VALU_DEP_4)
	v_add_f32_e32 v69, v69, v70
	v_pk_fma_f32 v[10:11], v[10:11], v[52:53], v[50:51]
	ds_load_b128 v[50:53], v35 offset:32
	v_cndmask_b32_e64 v56, 0, v56, s1
	v_cmp_nlt_f32_e64 s1, 0x42b17218, v57
	v_exp_f32_e32 v47, v69
	v_nop
	s_delay_alu instid0(TRANS32_DEP_1) | instskip(SKIP_3) | instid1(VALU_DEP_2)
	v_ldexp_f32 v47, v47, v49
	v_cndmask_b32_e64 v49, 0, v62, s0
	v_cmp_nlt_f32_e64 s0, 0x42b17218, v61
	v_mul_f32_e32 v62, v37, v33
	v_cndmask_b32_e64 v57, 0x7f800000, v49, s0
	v_cmp_ngt_f32_e64 s0, 0xc2ce8ed0, v64
	s_delay_alu instid0(VALU_DEP_1) | instskip(SKIP_2) | instid1(VALU_DEP_2)
	v_cndmask_b32_e64 v49, 0, v63, s0
	v_cmp_ngt_f32_e64 s0, 0xc2ce8ed0, v67
	v_cndmask_b32_e64 v56, 0x7f800000, v56, s1
	v_cndmask_b32_e64 v47, 0, v47, s0
	v_cmp_nlt_f32_e64 s0, 0x42b17218, v64
	s_delay_alu instid0(VALU_DEP_3)
	v_pk_fma_f32 v[12:13], v[12:13], v[56:57], v[54:55]
	ds_load_b128 v[54:57], v35 offset:48
	s_wait_dscnt 0x1
	v_pk_mul_f32 v[50:51], v[58:59], v[50:51] op_sel_hi:[0,1]
	v_mul_f32_e32 v59, v37, v29
	v_cndmask_b32_e64 v60, 0x7f800000, v49, s0
	v_cmp_nlt_f32_e64 s0, 0x42b17218, v67
	s_delay_alu instid0(VALU_DEP_3) | instskip(NEXT) | instid1(VALU_DEP_2)
	v_pk_mul_f32 v[52:53], v[58:59], v[52:53] op_sel_hi:[0,1]
	v_cndmask_b32_e64 v61, 0x7f800000, v47, s0
	v_mul_f32_e32 v47, v37, v28
	v_cmp_ngt_f32_e64 s0, 0xc2ce8ed0, v59
	s_delay_alu instid0(VALU_DEP_3) | instskip(NEXT) | instid1(VALU_DEP_3)
	v_pk_fma_f32 v[6:7], v[6:7], v[60:61], v[50:51]
	v_mul_f32_e32 v49, 0x3fb8aa3b, v47
	v_cmp_ngt_f32_e64 s1, 0xc2ce8ed0, v47
	s_delay_alu instid0(VALU_DEP_2) | instskip(SKIP_1) | instid1(VALU_DEP_2)
	v_fma_f32 v50, 0x3fb8aa3b, v47, -v49
	v_rndne_f32_e32 v51, v49
	v_fmac_f32_e32 v50, 0x32a5705f, v47
	s_delay_alu instid0(VALU_DEP_2) | instskip(SKIP_1) | instid1(VALU_DEP_2)
	v_sub_f32_e32 v49, v49, v51
	v_cvt_i32_f32_e32 v51, v51
	v_dual_add_f32 v49, v49, v50 :: v_dual_mul_f32 v50, 0x3fb8aa3b, v59
	s_delay_alu instid0(VALU_DEP_1) | instskip(NEXT) | instid1(VALU_DEP_1)
	v_exp_f32_e32 v49, v49
	v_fma_f32 v60, 0x3fb8aa3b, v59, -v50
	v_rndne_f32_e32 v61, v50
	s_delay_alu instid0(VALU_DEP_2) | instskip(NEXT) | instid1(VALU_DEP_2)
	v_fmac_f32_e32 v60, 0x32a5705f, v59
	v_sub_f32_e32 v50, v50, v61
	v_cvt_i32_f32_e32 v61, v61
	s_delay_alu instid0(TRANS32_DEP_1) | instskip(NEXT) | instid1(VALU_DEP_3)
	v_ldexp_f32 v49, v49, v51
	v_add_f32_e32 v50, v50, v60
	v_mul_f32_e32 v60, 0x3fb8aa3b, v62
	s_delay_alu instid0(VALU_DEP_2) | instskip(SKIP_1) | instid1(TRANS32_DEP_1)
	v_exp_f32_e32 v50, v50
	v_nop
	v_ldexp_f32 v50, v50, v61
	v_mov_b32_e32 v61, v58
	v_fma_f32 v63, 0x3fb8aa3b, v62, -v60
	v_rndne_f32_e32 v64, v60
	s_delay_alu instid0(VALU_DEP_4) | instskip(SKIP_1) | instid1(VALU_DEP_3)
	v_cndmask_b32_e64 v51, 0, v50, s0
	v_cmp_nlt_f32_e64 s0, 0x42b17218, v59
	v_dual_sub_f32 v60, v60, v64 :: v_dual_fmac_f32 v63, 0x32a5705f, v62
	s_delay_alu instid0(VALU_DEP_2) | instskip(SKIP_1) | instid1(VALU_DEP_3)
	v_cndmask_b32_e64 v51, 0x7f800000, v51, s0
	v_cmp_ngt_f32_e64 s0, 0xc2ce8ed0, v62
	v_dual_cndmask_b32 v49, 0, v49, s1 :: v_dual_add_f32 v60, v60, v63
	v_cmp_nlt_f32_e64 s1, 0x42b17218, v47
	s_delay_alu instid0(VALU_DEP_2) | instskip(NEXT) | instid1(VALU_DEP_1)
	v_exp_f32_e32 v47, v60
	v_cndmask_b32_e64 v50, 0x7f800000, v49, s1
	v_cvt_i32_f32_e32 v49, v64
	v_mov_b32_e32 v60, v5
	s_delay_alu instid0(VALU_DEP_3)
	v_pk_fma_f32 v[8:9], v[8:9], v[50:51], v[52:53]
	s_delay_alu instid0(TRANS32_DEP_1) | instid1(VALU_DEP_3)
	v_ldexp_f32 v47, v47, v49
	ds_load_b128 v[50:53], v35 offset:64
	v_cndmask_b32_e64 v47, 0, v47, s0
	v_cmp_nlt_f32_e64 s0, 0x42b17218, v62
	s_wait_dscnt 0x1
	v_mul_f32_e32 v62, v58, v56
	v_pk_mul_f32 v[58:59], v[58:59], v[54:55] op_sel_hi:[0,1]
	s_delay_alu instid0(VALU_DEP_3) | instskip(SKIP_1) | instid1(VALU_DEP_2)
	v_cndmask_b32_e64 v56, 0x7f800000, v47, s0
	v_mul_f32_e32 v47, v37, v30
	v_pk_mul_f32 v[60:61], v[60:61], v[56:57]
	ds_load_b128 v[54:57], v35 offset:80
	v_mul_f32_e32 v49, 0x3fb8aa3b, v47
	v_cmp_ngt_f32_e64 s1, 0xc2ce8ed0, v47
	s_wait_dscnt 0x1
	v_fma_f32 v5, v50, v14, 0
	s_delay_alu instid0(VALU_DEP_1) | instskip(NEXT) | instid1(VALU_DEP_1)
	v_fmac_f32_e32 v5, v51, v15
	v_fmac_f32_e32 v5, v52, v16
	s_delay_alu instid0(VALU_DEP_1)
	v_fmac_f32_e32 v5, v53, v17
	s_wait_dscnt 0x0
	v_pk_mul_f32 v[54:55], v[54:55], v[10:11]
	ds_load_b128 v[50:53], v35 offset:96
	v_pk_mul_f32 v[56:57], v[56:57], v[12:13]
	v_add_f32_e32 v5, v5, v54
	s_delay_alu instid0(VALU_DEP_1) | instskip(NEXT) | instid1(VALU_DEP_1)
	v_add_f32_e32 v5, v5, v55
	v_add_f32_e32 v5, v5, v56
	s_delay_alu instid0(VALU_DEP_1) | instskip(SKIP_4) | instid1(VALU_DEP_2)
	v_add_f32_e32 v5, v5, v57
	ds_load_b128 v[54:57], v35 offset:112
	s_wait_dscnt 0x1
	v_pk_mul_f32 v[50:51], v[50:51], v[6:7]
	v_pk_mul_f32 v[52:53], v[52:53], v[8:9]
	v_add_f32_e32 v5, v5, v50
	v_fma_f32 v50, 0x3fb8aa3b, v47, -v49
	s_delay_alu instid0(VALU_DEP_2) | instskip(SKIP_1) | instid1(VALU_DEP_3)
	v_add_f32_e32 v5, v5, v51
	v_rndne_f32_e32 v51, v49
	v_fmac_f32_e32 v50, 0x32a5705f, v47
	s_delay_alu instid0(VALU_DEP_2) | instskip(SKIP_1) | instid1(VALU_DEP_2)
	v_sub_f32_e32 v49, v49, v51
	v_cvt_i32_f32_e32 v51, v51
	v_add_f32_e32 v49, v49, v50
	v_dual_mul_f32 v50, v37, v31 :: v_dual_mul_f32 v37, v37, v32
	s_delay_alu instid0(VALU_DEP_2) | instskip(NEXT) | instid1(VALU_DEP_1)
	v_exp_f32_e32 v49, v49
	v_mul_f32_e32 v63, 0x3fb8aa3b, v50
	v_cmp_ngt_f32_e64 s0, 0xc2ce8ed0, v50
	s_delay_alu instid0(VALU_DEP_2) | instskip(SKIP_1) | instid1(TRANS32_DEP_1)
	v_fma_f32 v64, 0x3fb8aa3b, v50, -v63
	v_rndne_f32_e32 v65, v63
	v_ldexp_f32 v49, v49, v51
	s_delay_alu instid0(VALU_DEP_2) | instskip(NEXT) | instid1(VALU_DEP_1)
	v_dual_fmac_f32 v64, 0x32a5705f, v50 :: v_dual_sub_f32 v63, v63, v65
	v_dual_add_f32 v63, v63, v64 :: v_dual_mul_f32 v64, 0x3fb8aa3b, v37
	s_delay_alu instid0(VALU_DEP_1) | instskip(NEXT) | instid1(VALU_DEP_1)
	v_exp_f32_e32 v51, v63
	v_fma_f32 v66, 0x3fb8aa3b, v37, -v64
	v_rndne_f32_e32 v67, v64
	v_cvt_i32_f32_e32 v63, v65
	s_delay_alu instid0(VALU_DEP_3) | instskip(NEXT) | instid1(VALU_DEP_3)
	v_fmac_f32_e32 v66, 0x32a5705f, v37
	v_sub_f32_e32 v64, v64, v67
	s_delay_alu instid0(TRANS32_DEP_1) | instid1(VALU_DEP_3)
	v_ldexp_f32 v51, v51, v63
	s_delay_alu instid0(VALU_DEP_1) | instskip(SKIP_3) | instid1(VALU_DEP_4)
	v_dual_add_f32 v64, v64, v66 :: v_dual_cndmask_b32 v51, 0, v51, s0
	v_cmp_nlt_f32_e64 s0, 0x42b17218, v50
	v_cndmask_b32_e64 v49, 0, v49, s1
	v_cmp_nlt_f32_e64 s1, 0x42b17218, v47
	v_exp_f32_e32 v63, v64
	v_nop
	v_cvt_i32_f32_e32 v64, v67
	v_cndmask_b32_e64 v51, 0x7f800000, v51, s0
	v_cmp_ngt_f32_e64 s0, 0xc2ce8ed0, v37
	s_delay_alu instid0(TRANS32_DEP_1) | instid1(VALU_DEP_3)
	v_ldexp_f32 v63, v63, v64
	s_delay_alu instid0(VALU_DEP_1) | instskip(SKIP_2) | instid1(VALU_DEP_2)
	v_cndmask_b32_e64 v47, 0, v63, s0
	v_cmp_nlt_f32_e64 s0, 0x42b17218, v37
	v_mov_b32_e32 v63, v61
	v_cndmask_b32_e64 v37, 0x7f800000, v47, s0
	v_add_f32_e32 v47, v5, v52
	v_cndmask_b32_e64 v50, 0x7f800000, v49, s1
	v_mov_b32_e32 v5, v60
	s_delay_alu instid0(VALU_DEP_4) | instskip(NEXT) | instid1(VALU_DEP_4)
	v_mul_f32_e32 v4, v4, v37
	v_add_f32_e32 v37, v47, v53
	s_delay_alu instid0(VALU_DEP_4) | instskip(NEXT) | instid1(VALU_DEP_3)
	v_pk_fma_f32 v[2:3], v[2:3], v[50:51], v[58:59]
	v_pk_add_f32 v[4:5], v[4:5], v[62:63]
	s_wait_dscnt 0x0
	s_delay_alu instid0(VALU_DEP_2) | instskip(NEXT) | instid1(VALU_DEP_2)
	v_pk_mul_f32 v[50:51], v[54:55], v[2:3]
	v_pk_mul_f32 v[52:53], v[56:57], v[4:5]
	s_delay_alu instid0(VALU_DEP_2) | instskip(NEXT) | instid1(VALU_DEP_1)
	v_add_f32_e32 v37, v37, v50
	v_add_f32_e32 v37, v37, v51
	s_delay_alu instid0(VALU_DEP_1) | instskip(NEXT) | instid1(VALU_DEP_1)
	v_add_f32_e32 v37, v37, v52
	v_add_f32_e32 v37, v37, v53
	global_store_b32 v[44:45], v37, off
	s_wait_xcnt 0x0
	v_add_nc_u64_e32 v[44:45], s[6:7], v[44:45]
	s_wait_storecnt 0x0
	s_barrier_signal -1
	s_barrier_wait -1
	s_cbranch_scc1 .LBB10_7
.LBB10_3:                               ; =>This Inner Loop Header: Depth=1
	s_and_saveexec_b32 s0, vcc_lo
	s_cbranch_execz .LBB10_5
; %bb.4:                                ;   in Loop: Header=BB10_3 Depth=1
	global_load_b32 v37, v[0:1], off
	global_load_b32 v47, v[38:39], off
	s_wait_loadcnt 0x1
	ds_store_b32 v36, v37
	s_wait_loadcnt 0x0
	ds_store_b32 v48, v47
.LBB10_5:                               ;   in Loop: Header=BB10_3 Depth=1
	s_or_b32 exec_lo, exec_lo, s0
	s_wait_loadcnt_dscnt 0x0
	s_barrier_signal -1
	s_barrier_wait -1
	global_load_b32 v37, v[40:41], off
	s_mov_b32 s1, exec_lo
	s_wait_loadcnt 0x0
	v_cmpx_ge_f32_e32 0x41a00000, v37
	s_cbranch_execz .LBB10_2
; %bb.6:                                ;   in Loop: Header=BB10_3 Depth=1
	v_mul_f32_e32 v47, 0x3fb8aa3b, v37
	v_cmp_ngt_f32_e64 s0, 0xc2ce8ed0, v37
	s_delay_alu instid0(VALU_DEP_2) | instskip(SKIP_1) | instid1(VALU_DEP_2)
	v_rndne_f32_e32 v49, v47
	v_fma_f32 v50, 0x3fb8aa3b, v37, -v47
	v_sub_f32_e32 v47, v47, v49
	s_delay_alu instid0(VALU_DEP_2) | instskip(SKIP_1) | instid1(VALU_DEP_2)
	v_fmac_f32_e32 v50, 0x32a5705f, v37
	v_cvt_i32_f32_e32 v49, v49
	v_add_f32_e32 v47, v47, v50
	s_delay_alu instid0(VALU_DEP_1) | instskip(SKIP_1) | instid1(TRANS32_DEP_1)
	v_exp_f32_e32 v47, v47
	v_nop
	v_ldexp_f32 v47, v47, v49
	s_delay_alu instid0(VALU_DEP_1) | instskip(SKIP_1) | instid1(VALU_DEP_1)
	v_cndmask_b32_e64 v47, 0, v47, s0
	v_cmp_nlt_f32_e64 s0, 0x42b17218, v37
	v_cndmask_b32_e64 v49, 0x7f800000, v47, s0
	s_delay_alu instid0(VALU_DEP_1) | instskip(NEXT) | instid1(VALU_DEP_1)
	v_add_f32_e32 v37, 1.0, v49
	v_cvt_f64_f32_e32 v[50:51], v37
	s_delay_alu instid0(VALU_DEP_1) | instskip(SKIP_1) | instid1(VALU_DEP_1)
	v_frexp_exp_i32_f64_e32 v47, v[50:51]
	v_frexp_mant_f32_e32 v50, v37
	v_cmp_gt_f32_e64 s0, 0x3f2aaaab, v50
	v_add_f32_e32 v50, -1.0, v37
	s_delay_alu instid0(VALU_DEP_1) | instskip(NEXT) | instid1(VALU_DEP_3)
	v_dual_sub_f32 v52, v50, v37 :: v_dual_sub_f32 v50, v49, v50
	v_subrev_co_ci_u32_e64 v47, null, 0, v47, s0
	v_cmp_neq_f32_e64 s0, 0x7f800000, v49
	s_delay_alu instid0(VALU_DEP_2) | instskip(NEXT) | instid1(VALU_DEP_1)
	v_sub_nc_u32_e32 v51, 0, v47
	v_ldexp_f32 v37, v37, v51
	s_delay_alu instid0(VALU_DEP_1) | instskip(NEXT) | instid1(VALU_DEP_1)
	v_dual_add_f32 v52, 1.0, v52 :: v_dual_add_f32 v53, 1.0, v37
	v_dual_add_f32 v50, v50, v52 :: v_dual_add_f32 v52, -1.0, v53
	v_add_f32_e32 v55, -1.0, v37
	s_delay_alu instid0(VALU_DEP_2) | instskip(NEXT) | instid1(VALU_DEP_3)
	v_ldexp_f32 v50, v50, v51
	v_sub_f32_e32 v51, v37, v52
	s_delay_alu instid0(VALU_DEP_1) | instskip(NEXT) | instid1(VALU_DEP_1)
	v_add_f32_e32 v54, v50, v51
	v_dual_add_f32 v52, 1.0, v55 :: v_dual_add_f32 v56, v53, v54
	s_delay_alu instid0(VALU_DEP_1) | instskip(NEXT) | instid1(VALU_DEP_2)
	v_sub_f32_e32 v37, v37, v52
	v_rcp_f32_e32 v57, v56
	s_delay_alu instid0(VALU_DEP_1) | instskip(NEXT) | instid1(VALU_DEP_1)
	v_dual_add_f32 v37, v50, v37 :: v_dual_sub_f32 v50, v53, v56
	v_dual_add_f32 v51, v55, v37 :: v_dual_add_f32 v59, v54, v50
	s_delay_alu instid0(TRANS32_DEP_1) | instid1(VALU_DEP_1)
	v_mul_f32_e32 v58, v51, v57
	s_delay_alu instid0(VALU_DEP_1) | instskip(NEXT) | instid1(VALU_DEP_1)
	v_dual_mul_f32 v52, v56, v58 :: v_dual_sub_f32 v60, v55, v51
	v_fma_f32 v54, v58, v56, -v52
	s_delay_alu instid0(VALU_DEP_1) | instskip(NEXT) | instid1(VALU_DEP_1)
	v_dual_add_f32 v37, v37, v60 :: v_dual_fmac_f32 v54, v58, v59
	v_add_f32_e32 v50, v52, v54
	s_delay_alu instid0(VALU_DEP_1) | instskip(NEXT) | instid1(VALU_DEP_1)
	v_dual_sub_f32 v53, v51, v50 :: v_dual_mov_b32 v55, v50
	v_pk_add_f32 v[50:51], v[50:51], v[52:53] neg_lo:[0,1] neg_hi:[0,1]
	s_delay_alu instid0(VALU_DEP_1) | instskip(NEXT) | instid1(VALU_DEP_1)
	v_pk_add_f32 v[50:51], v[50:51], v[54:55] neg_lo:[0,1] neg_hi:[0,1]
	v_add_f32_e32 v37, v37, v51
	s_delay_alu instid0(VALU_DEP_1) | instskip(NEXT) | instid1(VALU_DEP_1)
	v_add_f32_e32 v37, v50, v37
	v_add_f32_e32 v51, v53, v37
	s_delay_alu instid0(VALU_DEP_1) | instskip(NEXT) | instid1(VALU_DEP_1)
	v_mul_f32_e32 v60, v57, v51
	v_mul_f32_e32 v54, v56, v60
	s_delay_alu instid0(VALU_DEP_1) | instskip(NEXT) | instid1(VALU_DEP_1)
	v_dual_fma_f32 v52, v60, v56, -v54 :: v_dual_sub_f32 v56, v53, v51
	v_dual_fmac_f32 v52, v60, v59 :: v_dual_add_f32 v37, v37, v56
	v_add_f32_e32 v56, v58, v60
	s_delay_alu instid0(VALU_DEP_2) | instskip(NEXT) | instid1(VALU_DEP_1)
	v_add_f32_e32 v50, v54, v52
	v_dual_sub_f32 v55, v51, v50 :: v_dual_mov_b32 v53, v50
	s_delay_alu instid0(VALU_DEP_1) | instskip(NEXT) | instid1(VALU_DEP_1)
	v_pk_add_f32 v[50:51], v[50:51], v[54:55] neg_lo:[0,1] neg_hi:[0,1]
	v_pk_add_f32 v[50:51], v[50:51], v[52:53] neg_lo:[0,1] neg_hi:[0,1]
	s_delay_alu instid0(VALU_DEP_1) | instskip(NEXT) | instid1(VALU_DEP_1)
	v_add_f32_e32 v37, v37, v51
	v_dual_add_f32 v37, v50, v37 :: v_dual_sub_f32 v50, v56, v58
	s_delay_alu instid0(VALU_DEP_1) | instskip(NEXT) | instid1(VALU_DEP_1)
	v_dual_sub_f32 v50, v60, v50 :: v_dual_add_f32 v37, v55, v37
	v_mul_f32_e32 v37, v57, v37
	s_delay_alu instid0(VALU_DEP_1) | instskip(SKIP_1) | instid1(VALU_DEP_2)
	v_add_f32_e32 v37, v50, v37
	v_cvt_f32_i32_e32 v50, v47
	v_add_f32_e32 v57, v56, v37
	s_delay_alu instid0(VALU_DEP_1) | instskip(NEXT) | instid1(VALU_DEP_1)
	v_mul_f32_e32 v52, v57, v57
	v_fmaak_f32 v53, s3, v52, 0x3ecc95a3
	v_mul_f32_e32 v51, v57, v52
	s_delay_alu instid0(VALU_DEP_2) | instskip(NEXT) | instid1(VALU_DEP_1)
	v_fmaak_f32 v47, v52, v53, 0x3f2aaada
	v_pk_mul_f32 v[52:53], v[50:51], v[46:47]
	v_sub_f32_e32 v47, v57, v56
	s_delay_alu instid0(VALU_DEP_2) | instskip(NEXT) | instid1(VALU_DEP_2)
	v_fma_f32 v54, 0x3f317218, v50, -v52
	v_sub_f32_e32 v37, v37, v47
	v_ldexp_f32 v55, v57, 1
	v_mov_b32_e32 v56, v52
	s_delay_alu instid0(VALU_DEP_4) | instskip(NEXT) | instid1(VALU_DEP_4)
	v_fmac_f32_e32 v54, 0xb102e308, v50
	v_ldexp_f32 v37, v37, 1
	s_delay_alu instid0(VALU_DEP_2) | instskip(NEXT) | instid1(VALU_DEP_1)
	v_pk_add_f32 v[50:51], v[52:53], v[54:55]
	v_dual_sub_f32 v47, v51, v55 :: v_dual_mov_b32 v55, v50
	s_delay_alu instid0(VALU_DEP_1) | instskip(SKIP_1) | instid1(VALU_DEP_2)
	v_sub_f32_e32 v47, v53, v47
	v_pk_add_f32 v[52:53], v[50:51], v[52:53] neg_lo:[0,1] neg_hi:[0,1]
	v_add_f32_e32 v57, v37, v47
	s_delay_alu instid0(VALU_DEP_1) | instskip(NEXT) | instid1(VALU_DEP_1)
	v_pk_add_f32 v[58:59], v[50:51], v[56:57]
	v_dual_mov_b32 v64, v51 :: v_dual_mov_b32 v53, v59
	s_delay_alu instid0(VALU_DEP_1) | instskip(SKIP_2) | instid1(VALU_DEP_3)
	v_pk_add_f32 v[60:61], v[54:55], v[52:53]
	v_mov_b32_e32 v60, v59
	v_pk_add_f32 v[52:53], v[54:55], v[52:53] neg_lo:[0,1] neg_hi:[0,1]
	v_mov_b32_e32 v56, v61
	s_delay_alu instid0(VALU_DEP_1) | instskip(SKIP_1) | instid1(VALU_DEP_2)
	v_pk_add_f32 v[62:63], v[56:57], v[50:51] neg_lo:[0,1] neg_hi:[0,1]
	v_dual_mov_b32 v51, v50 :: v_dual_mov_b32 v50, v57
	v_dual_mov_b32 v37, v62 :: v_dual_mov_b32 v65, v62
	s_delay_alu instid0(VALU_DEP_1) | instskip(NEXT) | instid1(VALU_DEP_2)
	v_pk_add_f32 v[54:55], v[58:59], v[36:37] neg_lo:[0,1] neg_hi:[0,1]
	v_pk_add_f32 v[62:63], v[60:61], v[64:65] neg_lo:[0,1] neg_hi:[0,1]
	v_mov_b32_e32 v54, v52
	s_delay_alu instid0(VALU_DEP_2) | instskip(NEXT) | instid1(VALU_DEP_1)
	v_pk_add_f32 v[50:51], v[50:51], v[62:63] neg_lo:[0,1] neg_hi:[0,1]
	v_pk_add_f32 v[54:55], v[54:55], v[50:51]
	s_delay_alu instid0(VALU_DEP_1) | instskip(NEXT) | instid1(VALU_DEP_1)
	v_mov_b32_e32 v58, v55
	v_pk_add_f32 v[58:59], v[54:55], v[58:59]
	s_delay_alu instid0(VALU_DEP_1) | instskip(NEXT) | instid1(VALU_DEP_1)
	v_pk_add_f32 v[56:57], v[56:57], v[58:59]
	v_dual_mov_b32 v53, v61 :: v_dual_mov_b32 v55, v56
	s_delay_alu instid0(VALU_DEP_1) | instskip(NEXT) | instid1(VALU_DEP_1)
	v_pk_add_f32 v[60:61], v[54:55], v[52:53] neg_lo:[0,1] neg_hi:[0,1]
	v_sub_f32_e32 v37, v54, v60
	s_delay_alu instid0(VALU_DEP_1) | instskip(NEXT) | instid1(VALU_DEP_1)
	v_dual_mov_b32 v51, v58 :: v_dual_sub_f32 v37, v52, v37
	v_pk_add_f32 v[50:51], v[50:51], v[60:61] neg_lo:[0,1] neg_hi:[0,1]
	s_delay_alu instid0(VALU_DEP_1) | instskip(NEXT) | instid1(VALU_DEP_1)
	v_add_f32_e32 v37, v50, v37
	v_add_f32_e32 v37, v37, v51
	s_delay_alu instid0(VALU_DEP_1) | instskip(NEXT) | instid1(VALU_DEP_1)
	v_add_f32_e32 v37, v56, v37
	v_cndmask_b32_e64 v37, 0x7f800000, v37, s0
	v_cmp_gt_f32_e64 s0, 0x33800000, v49
	s_delay_alu instid0(VALU_DEP_1)
	v_cndmask_b32_e64 v37, v37, v49, s0
	s_branch .LBB10_2
.LBB10_7:
	s_add_nc_u64 s[0:1], s[18:19], s[28:29]
	s_mul_i32 s2, s21, s2
	s_mov_b32 s3, 0
	s_delay_alu instid0(SALU_CYCLE_1) | instskip(NEXT) | instid1(SALU_CYCLE_1)
	s_add_nc_u64 s[0:1], s[0:1], s[2:3]
	s_add_nc_u64 s[0:1], s[0:1], s[16:17]
	s_delay_alu instid0(SALU_CYCLE_1)
	v_lshl_add_u64 v[0:1], v[34:35], 2, s[0:1]
	s_wait_loadcnt 0x3
	global_store_b128 v[0:1], v[14:17], off
	s_wait_loadcnt 0x2
	global_store_b128 v[0:1], v[10:13], off offset:16
	s_wait_loadcnt 0x1
	global_store_b128 v[0:1], v[6:9], off offset:32
	;; [unrolled: 2-line block ×3, first 2 shown]
	s_sendmsg sendmsg(MSG_DEALLOC_VGPRS)
	s_endpgm
	.section	.rodata,"a",@progbits
	.p2align	6, 0x0
	.amdhsa_kernel _Z12ssm_scan_f32ILm128ELm16ELm0EEvPKfS1_S1_S1_S1_S1_PKiPfiiiiiiiiiiilll
		.amdhsa_group_segment_fixed_size 128
		.amdhsa_private_segment_fixed_size 0
		.amdhsa_kernarg_size 136
		.amdhsa_user_sgpr_count 2
		.amdhsa_user_sgpr_dispatch_ptr 0
		.amdhsa_user_sgpr_queue_ptr 0
		.amdhsa_user_sgpr_kernarg_segment_ptr 1
		.amdhsa_user_sgpr_dispatch_id 0
		.amdhsa_user_sgpr_kernarg_preload_length 0
		.amdhsa_user_sgpr_kernarg_preload_offset 0
		.amdhsa_user_sgpr_private_segment_size 0
		.amdhsa_wavefront_size32 1
		.amdhsa_uses_dynamic_stack 0
		.amdhsa_enable_private_segment 0
		.amdhsa_system_sgpr_workgroup_id_x 1
		.amdhsa_system_sgpr_workgroup_id_y 1
		.amdhsa_system_sgpr_workgroup_id_z 0
		.amdhsa_system_sgpr_workgroup_info 0
		.amdhsa_system_vgpr_workitem_id 0
		.amdhsa_next_free_vgpr 72
		.amdhsa_next_free_sgpr 40
		.amdhsa_named_barrier_count 0
		.amdhsa_reserve_vcc 1
		.amdhsa_float_round_mode_32 0
		.amdhsa_float_round_mode_16_64 0
		.amdhsa_float_denorm_mode_32 3
		.amdhsa_float_denorm_mode_16_64 3
		.amdhsa_fp16_overflow 0
		.amdhsa_memory_ordered 1
		.amdhsa_forward_progress 1
		.amdhsa_inst_pref_size 33
		.amdhsa_round_robin_scheduling 0
		.amdhsa_exception_fp_ieee_invalid_op 0
		.amdhsa_exception_fp_denorm_src 0
		.amdhsa_exception_fp_ieee_div_zero 0
		.amdhsa_exception_fp_ieee_overflow 0
		.amdhsa_exception_fp_ieee_underflow 0
		.amdhsa_exception_fp_ieee_inexact 0
		.amdhsa_exception_int_div_zero 0
	.end_amdhsa_kernel
	.section	.text._Z12ssm_scan_f32ILm128ELm16ELm0EEvPKfS1_S1_S1_S1_S1_PKiPfiiiiiiiiiiilll,"axG",@progbits,_Z12ssm_scan_f32ILm128ELm16ELm0EEvPKfS1_S1_S1_S1_S1_PKiPfiiiiiiiiiiilll,comdat
.Lfunc_end10:
	.size	_Z12ssm_scan_f32ILm128ELm16ELm0EEvPKfS1_S1_S1_S1_S1_PKiPfiiiiiiiiiiilll, .Lfunc_end10-_Z12ssm_scan_f32ILm128ELm16ELm0EEvPKfS1_S1_S1_S1_S1_PKiPfiiiiiiiiiiilll
                                        ; -- End function
	.set _Z12ssm_scan_f32ILm128ELm16ELm0EEvPKfS1_S1_S1_S1_S1_PKiPfiiiiiiiiiiilll.num_vgpr, 72
	.set _Z12ssm_scan_f32ILm128ELm16ELm0EEvPKfS1_S1_S1_S1_S1_PKiPfiiiiiiiiiiilll.num_agpr, 0
	.set _Z12ssm_scan_f32ILm128ELm16ELm0EEvPKfS1_S1_S1_S1_S1_PKiPfiiiiiiiiiiilll.numbered_sgpr, 40
	.set _Z12ssm_scan_f32ILm128ELm16ELm0EEvPKfS1_S1_S1_S1_S1_PKiPfiiiiiiiiiiilll.num_named_barrier, 0
	.set _Z12ssm_scan_f32ILm128ELm16ELm0EEvPKfS1_S1_S1_S1_S1_PKiPfiiiiiiiiiiilll.private_seg_size, 0
	.set _Z12ssm_scan_f32ILm128ELm16ELm0EEvPKfS1_S1_S1_S1_S1_PKiPfiiiiiiiiiiilll.uses_vcc, 1
	.set _Z12ssm_scan_f32ILm128ELm16ELm0EEvPKfS1_S1_S1_S1_S1_PKiPfiiiiiiiiiiilll.uses_flat_scratch, 0
	.set _Z12ssm_scan_f32ILm128ELm16ELm0EEvPKfS1_S1_S1_S1_S1_PKiPfiiiiiiiiiiilll.has_dyn_sized_stack, 0
	.set _Z12ssm_scan_f32ILm128ELm16ELm0EEvPKfS1_S1_S1_S1_S1_PKiPfiiiiiiiiiiilll.has_recursion, 0
	.set _Z12ssm_scan_f32ILm128ELm16ELm0EEvPKfS1_S1_S1_S1_S1_PKiPfiiiiiiiiiiilll.has_indirect_call, 0
	.section	.AMDGPU.csdata,"",@progbits
; Kernel info:
; codeLenInByte = 4136
; TotalNumSgprs: 42
; NumVgprs: 72
; ScratchSize: 0
; MemoryBound: 0
; FloatMode: 240
; IeeeMode: 1
; LDSByteSize: 128 bytes/workgroup (compile time only)
; SGPRBlocks: 0
; VGPRBlocks: 4
; NumSGPRsForWavesPerEU: 42
; NumVGPRsForWavesPerEU: 72
; NamedBarCnt: 0
; Occupancy: 12
; WaveLimiterHint : 1
; COMPUTE_PGM_RSRC2:SCRATCH_EN: 0
; COMPUTE_PGM_RSRC2:USER_SGPR: 2
; COMPUTE_PGM_RSRC2:TRAP_HANDLER: 0
; COMPUTE_PGM_RSRC2:TGID_X_EN: 1
; COMPUTE_PGM_RSRC2:TGID_Y_EN: 1
; COMPUTE_PGM_RSRC2:TGID_Z_EN: 0
; COMPUTE_PGM_RSRC2:TIDIG_COMP_CNT: 0
	.section	.AMDGPU.gpr_maximums,"",@progbits
	.set amdgpu.max_num_vgpr, 0
	.set amdgpu.max_num_agpr, 0
	.set amdgpu.max_num_sgpr, 0
	.section	.AMDGPU.csdata,"",@progbits
	.type	__hip_cuid_b1ee96518a54d81a,@object ; @__hip_cuid_b1ee96518a54d81a
	.section	.bss,"aw",@nobits
	.globl	__hip_cuid_b1ee96518a54d81a
__hip_cuid_b1ee96518a54d81a:
	.byte	0                               ; 0x0
	.size	__hip_cuid_b1ee96518a54d81a, 1

	.ident	"AMD clang version 22.0.0git (https://github.com/RadeonOpenCompute/llvm-project roc-7.2.4 26084 f58b06dce1f9c15707c5f808fd002e18c2accf7e)"
	.section	".note.GNU-stack","",@progbits
	.addrsig
	.addrsig_sym __hip_cuid_b1ee96518a54d81a
	.amdgpu_metadata
---
amdhsa.kernels:
  - .args:
      - .address_space:  global
        .offset:         0
        .size:           8
        .value_kind:     global_buffer
      - .address_space:  global
        .offset:         8
        .size:           8
        .value_kind:     global_buffer
      - .address_space:  global
        .offset:         16
        .size:           8
        .value_kind:     global_buffer
      - .address_space:  global
        .offset:         24
        .size:           8
        .value_kind:     global_buffer
      - .address_space:  global
        .offset:         32
        .size:           8
        .value_kind:     global_buffer
      - .address_space:  global
        .offset:         40
        .size:           8
        .value_kind:     global_buffer
      - .address_space:  global
        .offset:         48
        .size:           8
        .value_kind:     global_buffer
      - .address_space:  global
        .offset:         56
        .size:           8
        .value_kind:     global_buffer
      - .offset:         64
        .size:           4
        .value_kind:     by_value
      - .offset:         68
        .size:           4
        .value_kind:     by_value
      - .offset:         72
        .size:           4
        .value_kind:     by_value
      - .offset:         76
        .size:           4
        .value_kind:     by_value
      - .offset:         80
        .size:           4
        .value_kind:     by_value
      - .offset:         84
        .size:           4
        .value_kind:     by_value
      - .offset:         88
        .size:           4
        .value_kind:     by_value
      - .offset:         92
        .size:           4
        .value_kind:     by_value
      - .offset:         96
        .size:           4
        .value_kind:     by_value
      - .offset:         100
        .size:           4
        .value_kind:     by_value
      - .offset:         104
        .size:           4
        .value_kind:     by_value
      - .offset:         112
        .size:           8
        .value_kind:     by_value
      - .offset:         120
        .size:           8
        .value_kind:     by_value
      - .offset:         128
        .size:           8
        .value_kind:     by_value
      - .offset:         136
        .size:           8
        .value_kind:     by_value
      - .offset:         144
        .size:           8
        .value_kind:     by_value
    .group_segment_fixed_size: 0
    .kernarg_segment_align: 8
    .kernarg_segment_size: 152
    .language:       OpenCL C
    .language_version:
      - 2
      - 0
    .max_flat_workgroup_size: 128
    .name:           _Z18ssm_scan_f32_groupILi4ELi128EEvPKfS1_S1_S1_S1_S1_PKiPfiiiiiiiiiiilllll
    .private_segment_fixed_size: 0
    .sgpr_count:     56
    .sgpr_spill_count: 0
    .symbol:         _Z18ssm_scan_f32_groupILi4ELi128EEvPKfS1_S1_S1_S1_S1_PKiPfiiiiiiiiiiilllll.kd
    .uniform_work_group_size: 1
    .uses_dynamic_stack: false
    .vgpr_count:     48
    .vgpr_spill_count: 0
    .wavefront_size: 32
  - .args:
      - .address_space:  global
        .offset:         0
        .size:           8
        .value_kind:     global_buffer
      - .address_space:  global
        .offset:         8
        .size:           8
        .value_kind:     global_buffer
      - .address_space:  global
        .offset:         16
        .size:           8
        .value_kind:     global_buffer
      - .address_space:  global
        .offset:         24
        .size:           8
        .value_kind:     global_buffer
      - .address_space:  global
        .offset:         32
        .size:           8
        .value_kind:     global_buffer
      - .address_space:  global
        .offset:         40
        .size:           8
        .value_kind:     global_buffer
      - .address_space:  global
        .offset:         48
        .size:           8
        .value_kind:     global_buffer
      - .address_space:  global
        .offset:         56
        .size:           8
        .value_kind:     global_buffer
      - .offset:         64
        .size:           4
        .value_kind:     by_value
      - .offset:         68
        .size:           4
        .value_kind:     by_value
      - .offset:         72
        .size:           4
        .value_kind:     by_value
      - .offset:         76
        .size:           4
        .value_kind:     by_value
      - .offset:         80
        .size:           4
        .value_kind:     by_value
      - .offset:         84
        .size:           4
        .value_kind:     by_value
      - .offset:         88
        .size:           4
        .value_kind:     by_value
      - .offset:         92
        .size:           4
        .value_kind:     by_value
      - .offset:         96
        .size:           4
        .value_kind:     by_value
      - .offset:         100
        .size:           4
        .value_kind:     by_value
      - .offset:         104
        .size:           4
        .value_kind:     by_value
      - .offset:         112
        .size:           8
        .value_kind:     by_value
      - .offset:         120
        .size:           8
        .value_kind:     by_value
      - .offset:         128
        .size:           8
        .value_kind:     by_value
      - .offset:         136
        .size:           8
        .value_kind:     by_value
      - .offset:         144
        .size:           8
        .value_kind:     by_value
    .group_segment_fixed_size: 0
    .kernarg_segment_align: 8
    .kernarg_segment_size: 152
    .language:       OpenCL C
    .language_version:
      - 2
      - 0
    .max_flat_workgroup_size: 256
    .name:           _Z18ssm_scan_f32_groupILi8ELi256EEvPKfS1_S1_S1_S1_S1_PKiPfiiiiiiiiiiilllll
    .private_segment_fixed_size: 0
    .sgpr_count:     56
    .sgpr_spill_count: 0
    .symbol:         _Z18ssm_scan_f32_groupILi8ELi256EEvPKfS1_S1_S1_S1_S1_PKiPfiiiiiiiiiiilllll.kd
    .uniform_work_group_size: 1
    .uses_dynamic_stack: false
    .vgpr_count:     56
    .vgpr_spill_count: 0
    .wavefront_size: 32
  - .args:
      - .address_space:  global
        .offset:         0
        .size:           8
        .value_kind:     global_buffer
      - .address_space:  global
        .offset:         8
        .size:           8
        .value_kind:     global_buffer
      - .address_space:  global
        .offset:         16
        .size:           8
        .value_kind:     global_buffer
      - .address_space:  global
        .offset:         24
        .size:           8
        .value_kind:     global_buffer
      - .address_space:  global
        .offset:         32
        .size:           8
        .value_kind:     global_buffer
      - .address_space:  global
        .offset:         40
        .size:           8
        .value_kind:     global_buffer
      - .address_space:  global
        .offset:         48
        .size:           8
        .value_kind:     global_buffer
      - .address_space:  global
        .offset:         56
        .size:           8
        .value_kind:     global_buffer
      - .offset:         64
        .size:           4
        .value_kind:     by_value
      - .offset:         68
        .size:           4
        .value_kind:     by_value
      - .offset:         72
        .size:           4
        .value_kind:     by_value
      - .offset:         76
        .size:           4
        .value_kind:     by_value
      - .offset:         80
        .size:           4
        .value_kind:     by_value
      - .offset:         84
        .size:           4
        .value_kind:     by_value
      - .offset:         88
        .size:           4
        .value_kind:     by_value
      - .offset:         92
        .size:           4
        .value_kind:     by_value
      - .offset:         96
        .size:           4
        .value_kind:     by_value
      - .offset:         100
        .size:           4
        .value_kind:     by_value
      - .offset:         104
        .size:           4
        .value_kind:     by_value
      - .offset:         112
        .size:           8
        .value_kind:     by_value
      - .offset:         120
        .size:           8
        .value_kind:     by_value
      - .offset:         128
        .size:           8
        .value_kind:     by_value
    .group_segment_fixed_size: 128
    .kernarg_segment_align: 8
    .kernarg_segment_size: 136
    .language:       OpenCL C
    .language_version:
      - 2
      - 0
    .max_flat_workgroup_size: 128
    .name:           _Z12ssm_scan_f32ILm128ELm16ELm1EEvPKfS1_S1_S1_S1_S1_PKiPfiiiiiiiiiiilll
    .private_segment_fixed_size: 0
    .sgpr_count:     31
    .sgpr_spill_count: 0
    .symbol:         _Z12ssm_scan_f32ILm128ELm16ELm1EEvPKfS1_S1_S1_S1_S1_PKiPfiiiiiiiiiiilll.kd
    .uniform_work_group_size: 1
    .uses_dynamic_stack: false
    .vgpr_count:     64
    .vgpr_spill_count: 0
    .wavefront_size: 32
  - .args:
      - .address_space:  global
        .offset:         0
        .size:           8
        .value_kind:     global_buffer
      - .address_space:  global
        .offset:         8
        .size:           8
        .value_kind:     global_buffer
      - .address_space:  global
        .offset:         16
        .size:           8
        .value_kind:     global_buffer
      - .address_space:  global
        .offset:         24
        .size:           8
        .value_kind:     global_buffer
      - .address_space:  global
        .offset:         32
        .size:           8
        .value_kind:     global_buffer
      - .address_space:  global
        .offset:         40
        .size:           8
        .value_kind:     global_buffer
      - .address_space:  global
        .offset:         48
        .size:           8
        .value_kind:     global_buffer
      - .address_space:  global
        .offset:         56
        .size:           8
        .value_kind:     global_buffer
      - .offset:         64
        .size:           4
        .value_kind:     by_value
      - .offset:         68
        .size:           4
        .value_kind:     by_value
      - .offset:         72
        .size:           4
        .value_kind:     by_value
      - .offset:         76
        .size:           4
        .value_kind:     by_value
      - .offset:         80
        .size:           4
        .value_kind:     by_value
      - .offset:         84
        .size:           4
        .value_kind:     by_value
      - .offset:         88
        .size:           4
        .value_kind:     by_value
      - .offset:         92
        .size:           4
        .value_kind:     by_value
      - .offset:         96
        .size:           4
        .value_kind:     by_value
      - .offset:         100
        .size:           4
        .value_kind:     by_value
      - .offset:         104
        .size:           4
        .value_kind:     by_value
      - .offset:         112
        .size:           8
        .value_kind:     by_value
      - .offset:         120
        .size:           8
        .value_kind:     by_value
      - .offset:         128
        .size:           8
        .value_kind:     by_value
    .group_segment_fixed_size: 128
    .kernarg_segment_align: 8
    .kernarg_segment_size: 136
    .language:       OpenCL C
    .language_version:
      - 2
      - 0
    .max_flat_workgroup_size: 128
    .name:           _Z12ssm_scan_f32ILm128ELm16ELm2EEvPKfS1_S1_S1_S1_S1_PKiPfiiiiiiiiiiilll
    .private_segment_fixed_size: 0
    .sgpr_count:     38
    .sgpr_spill_count: 0
    .symbol:         _Z12ssm_scan_f32ILm128ELm16ELm2EEvPKfS1_S1_S1_S1_S1_PKiPfiiiiiiiiiiilll.kd
    .uniform_work_group_size: 1
    .uses_dynamic_stack: false
    .vgpr_count:     80
    .vgpr_spill_count: 0
    .wavefront_size: 32
  - .args:
      - .address_space:  global
        .offset:         0
        .size:           8
        .value_kind:     global_buffer
      - .address_space:  global
        .offset:         8
        .size:           8
        .value_kind:     global_buffer
      - .address_space:  global
        .offset:         16
        .size:           8
        .value_kind:     global_buffer
      - .address_space:  global
        .offset:         24
        .size:           8
        .value_kind:     global_buffer
      - .address_space:  global
        .offset:         32
        .size:           8
        .value_kind:     global_buffer
      - .address_space:  global
        .offset:         40
        .size:           8
        .value_kind:     global_buffer
      - .address_space:  global
        .offset:         48
        .size:           8
        .value_kind:     global_buffer
      - .address_space:  global
        .offset:         56
        .size:           8
        .value_kind:     global_buffer
      - .offset:         64
        .size:           4
        .value_kind:     by_value
      - .offset:         68
        .size:           4
        .value_kind:     by_value
      - .offset:         72
        .size:           4
        .value_kind:     by_value
      - .offset:         76
        .size:           4
        .value_kind:     by_value
      - .offset:         80
        .size:           4
        .value_kind:     by_value
      - .offset:         84
        .size:           4
        .value_kind:     by_value
      - .offset:         88
        .size:           4
        .value_kind:     by_value
      - .offset:         92
        .size:           4
        .value_kind:     by_value
      - .offset:         96
        .size:           4
        .value_kind:     by_value
      - .offset:         100
        .size:           4
        .value_kind:     by_value
      - .offset:         104
        .size:           4
        .value_kind:     by_value
      - .offset:         112
        .size:           8
        .value_kind:     by_value
      - .offset:         120
        .size:           8
        .value_kind:     by_value
      - .offset:         128
        .size:           8
        .value_kind:     by_value
    .group_segment_fixed_size: 128
    .kernarg_segment_align: 8
    .kernarg_segment_size: 136
    .language:       OpenCL C
    .language_version:
      - 2
      - 0
    .max_flat_workgroup_size: 128
    .name:           _Z12ssm_scan_f32ILm128ELm16ELm3EEvPKfS1_S1_S1_S1_S1_PKiPfiiiiiiiiiiilll
    .private_segment_fixed_size: 0
    .sgpr_count:     38
    .sgpr_spill_count: 0
    .symbol:         _Z12ssm_scan_f32ILm128ELm16ELm3EEvPKfS1_S1_S1_S1_S1_PKiPfiiiiiiiiiiilll.kd
    .uniform_work_group_size: 1
    .uses_dynamic_stack: false
    .vgpr_count:     124
    .vgpr_spill_count: 0
    .wavefront_size: 32
  - .args:
      - .address_space:  global
        .offset:         0
        .size:           8
        .value_kind:     global_buffer
      - .address_space:  global
        .offset:         8
        .size:           8
        .value_kind:     global_buffer
      - .address_space:  global
        .offset:         16
        .size:           8
        .value_kind:     global_buffer
      - .address_space:  global
        .offset:         24
        .size:           8
        .value_kind:     global_buffer
      - .address_space:  global
        .offset:         32
        .size:           8
        .value_kind:     global_buffer
      - .address_space:  global
        .offset:         40
        .size:           8
        .value_kind:     global_buffer
      - .address_space:  global
        .offset:         48
        .size:           8
        .value_kind:     global_buffer
      - .address_space:  global
        .offset:         56
        .size:           8
        .value_kind:     global_buffer
      - .offset:         64
        .size:           4
        .value_kind:     by_value
      - .offset:         68
        .size:           4
        .value_kind:     by_value
      - .offset:         72
        .size:           4
        .value_kind:     by_value
      - .offset:         76
        .size:           4
        .value_kind:     by_value
      - .offset:         80
        .size:           4
        .value_kind:     by_value
      - .offset:         84
        .size:           4
        .value_kind:     by_value
      - .offset:         88
        .size:           4
        .value_kind:     by_value
      - .offset:         92
        .size:           4
        .value_kind:     by_value
      - .offset:         96
        .size:           4
        .value_kind:     by_value
      - .offset:         100
        .size:           4
        .value_kind:     by_value
      - .offset:         104
        .size:           4
        .value_kind:     by_value
      - .offset:         112
        .size:           8
        .value_kind:     by_value
      - .offset:         120
        .size:           8
        .value_kind:     by_value
      - .offset:         128
        .size:           8
        .value_kind:     by_value
    .group_segment_fixed_size: 128
    .kernarg_segment_align: 8
    .kernarg_segment_size: 136
    .language:       OpenCL C
    .language_version:
      - 2
      - 0
    .max_flat_workgroup_size: 128
    .name:           _Z12ssm_scan_f32ILm128ELm16ELm4EEvPKfS1_S1_S1_S1_S1_PKiPfiiiiiiiiiiilll
    .private_segment_fixed_size: 0
    .sgpr_count:     38
    .sgpr_spill_count: 0
    .symbol:         _Z12ssm_scan_f32ILm128ELm16ELm4EEvPKfS1_S1_S1_S1_S1_PKiPfiiiiiiiiiiilll.kd
    .uniform_work_group_size: 1
    .uses_dynamic_stack: false
    .vgpr_count:     144
    .vgpr_spill_count: 0
    .wavefront_size: 32
  - .args:
      - .address_space:  global
        .offset:         0
        .size:           8
        .value_kind:     global_buffer
      - .address_space:  global
        .offset:         8
        .size:           8
        .value_kind:     global_buffer
      - .address_space:  global
        .offset:         16
        .size:           8
        .value_kind:     global_buffer
      - .address_space:  global
        .offset:         24
        .size:           8
        .value_kind:     global_buffer
      - .address_space:  global
        .offset:         32
        .size:           8
        .value_kind:     global_buffer
      - .address_space:  global
        .offset:         40
        .size:           8
        .value_kind:     global_buffer
      - .address_space:  global
        .offset:         48
        .size:           8
        .value_kind:     global_buffer
      - .address_space:  global
        .offset:         56
        .size:           8
        .value_kind:     global_buffer
      - .offset:         64
        .size:           4
        .value_kind:     by_value
      - .offset:         68
        .size:           4
        .value_kind:     by_value
      - .offset:         72
        .size:           4
        .value_kind:     by_value
      - .offset:         76
        .size:           4
        .value_kind:     by_value
      - .offset:         80
        .size:           4
        .value_kind:     by_value
      - .offset:         84
        .size:           4
        .value_kind:     by_value
      - .offset:         88
        .size:           4
        .value_kind:     by_value
      - .offset:         92
        .size:           4
        .value_kind:     by_value
      - .offset:         96
        .size:           4
        .value_kind:     by_value
      - .offset:         100
        .size:           4
        .value_kind:     by_value
      - .offset:         104
        .size:           4
        .value_kind:     by_value
      - .offset:         112
        .size:           8
        .value_kind:     by_value
      - .offset:         120
        .size:           8
        .value_kind:     by_value
      - .offset:         128
        .size:           8
        .value_kind:     by_value
    .group_segment_fixed_size: 128
    .kernarg_segment_align: 8
    .kernarg_segment_size: 136
    .language:       OpenCL C
    .language_version:
      - 2
      - 0
    .max_flat_workgroup_size: 128
    .name:           _Z12ssm_scan_f32ILm128ELm16ELm5EEvPKfS1_S1_S1_S1_S1_PKiPfiiiiiiiiiiilll
    .private_segment_fixed_size: 0
    .sgpr_count:     38
    .sgpr_spill_count: 0
    .symbol:         _Z12ssm_scan_f32ILm128ELm16ELm5EEvPKfS1_S1_S1_S1_S1_PKiPfiiiiiiiiiiilll.kd
    .uniform_work_group_size: 1
    .uses_dynamic_stack: false
    .vgpr_count:     144
    .vgpr_spill_count: 0
    .wavefront_size: 32
  - .args:
      - .address_space:  global
        .offset:         0
        .size:           8
        .value_kind:     global_buffer
      - .address_space:  global
        .offset:         8
        .size:           8
        .value_kind:     global_buffer
      - .address_space:  global
        .offset:         16
        .size:           8
        .value_kind:     global_buffer
      - .address_space:  global
        .offset:         24
        .size:           8
        .value_kind:     global_buffer
      - .address_space:  global
        .offset:         32
        .size:           8
        .value_kind:     global_buffer
      - .address_space:  global
        .offset:         40
        .size:           8
        .value_kind:     global_buffer
      - .address_space:  global
        .offset:         48
        .size:           8
        .value_kind:     global_buffer
      - .address_space:  global
        .offset:         56
        .size:           8
        .value_kind:     global_buffer
      - .offset:         64
        .size:           4
        .value_kind:     by_value
      - .offset:         68
        .size:           4
        .value_kind:     by_value
      - .offset:         72
        .size:           4
        .value_kind:     by_value
      - .offset:         76
        .size:           4
        .value_kind:     by_value
      - .offset:         80
        .size:           4
        .value_kind:     by_value
      - .offset:         84
        .size:           4
        .value_kind:     by_value
      - .offset:         88
        .size:           4
        .value_kind:     by_value
      - .offset:         92
        .size:           4
        .value_kind:     by_value
      - .offset:         96
        .size:           4
        .value_kind:     by_value
      - .offset:         100
        .size:           4
        .value_kind:     by_value
      - .offset:         104
        .size:           4
        .value_kind:     by_value
      - .offset:         112
        .size:           8
        .value_kind:     by_value
      - .offset:         120
        .size:           8
        .value_kind:     by_value
      - .offset:         128
        .size:           8
        .value_kind:     by_value
    .group_segment_fixed_size: 128
    .kernarg_segment_align: 8
    .kernarg_segment_size: 136
    .language:       OpenCL C
    .language_version:
      - 2
      - 0
    .max_flat_workgroup_size: 128
    .name:           _Z12ssm_scan_f32ILm128ELm16ELm6EEvPKfS1_S1_S1_S1_S1_PKiPfiiiiiiiiiiilll
    .private_segment_fixed_size: 0
    .sgpr_count:     38
    .sgpr_spill_count: 0
    .symbol:         _Z12ssm_scan_f32ILm128ELm16ELm6EEvPKfS1_S1_S1_S1_S1_PKiPfiiiiiiiiiiilll.kd
    .uniform_work_group_size: 1
    .uses_dynamic_stack: false
    .vgpr_count:     144
    .vgpr_spill_count: 0
    .wavefront_size: 32
  - .args:
      - .address_space:  global
        .offset:         0
        .size:           8
        .value_kind:     global_buffer
      - .address_space:  global
        .offset:         8
        .size:           8
        .value_kind:     global_buffer
      - .address_space:  global
        .offset:         16
        .size:           8
        .value_kind:     global_buffer
      - .address_space:  global
        .offset:         24
        .size:           8
        .value_kind:     global_buffer
      - .address_space:  global
        .offset:         32
        .size:           8
        .value_kind:     global_buffer
      - .address_space:  global
        .offset:         40
        .size:           8
        .value_kind:     global_buffer
      - .address_space:  global
        .offset:         48
        .size:           8
        .value_kind:     global_buffer
      - .address_space:  global
        .offset:         56
        .size:           8
        .value_kind:     global_buffer
      - .offset:         64
        .size:           4
        .value_kind:     by_value
      - .offset:         68
        .size:           4
        .value_kind:     by_value
      - .offset:         72
        .size:           4
        .value_kind:     by_value
      - .offset:         76
        .size:           4
        .value_kind:     by_value
      - .offset:         80
        .size:           4
        .value_kind:     by_value
      - .offset:         84
        .size:           4
        .value_kind:     by_value
      - .offset:         88
        .size:           4
        .value_kind:     by_value
      - .offset:         92
        .size:           4
        .value_kind:     by_value
      - .offset:         96
        .size:           4
        .value_kind:     by_value
      - .offset:         100
        .size:           4
        .value_kind:     by_value
      - .offset:         104
        .size:           4
        .value_kind:     by_value
      - .offset:         112
        .size:           8
        .value_kind:     by_value
      - .offset:         120
        .size:           8
        .value_kind:     by_value
      - .offset:         128
        .size:           8
        .value_kind:     by_value
    .group_segment_fixed_size: 128
    .kernarg_segment_align: 8
    .kernarg_segment_size: 136
    .language:       OpenCL C
    .language_version:
      - 2
      - 0
    .max_flat_workgroup_size: 128
    .name:           _Z12ssm_scan_f32ILm128ELm16ELm7EEvPKfS1_S1_S1_S1_S1_PKiPfiiiiiiiiiiilll
    .private_segment_fixed_size: 0
    .sgpr_count:     38
    .sgpr_spill_count: 0
    .symbol:         _Z12ssm_scan_f32ILm128ELm16ELm7EEvPKfS1_S1_S1_S1_S1_PKiPfiiiiiiiiiiilll.kd
    .uniform_work_group_size: 1
    .uses_dynamic_stack: false
    .vgpr_count:     144
    .vgpr_spill_count: 0
    .wavefront_size: 32
  - .args:
      - .address_space:  global
        .offset:         0
        .size:           8
        .value_kind:     global_buffer
      - .address_space:  global
        .offset:         8
        .size:           8
        .value_kind:     global_buffer
      - .address_space:  global
        .offset:         16
        .size:           8
        .value_kind:     global_buffer
      - .address_space:  global
        .offset:         24
        .size:           8
        .value_kind:     global_buffer
      - .address_space:  global
        .offset:         32
        .size:           8
        .value_kind:     global_buffer
      - .address_space:  global
        .offset:         40
        .size:           8
        .value_kind:     global_buffer
      - .address_space:  global
        .offset:         48
        .size:           8
        .value_kind:     global_buffer
      - .address_space:  global
        .offset:         56
        .size:           8
        .value_kind:     global_buffer
      - .offset:         64
        .size:           4
        .value_kind:     by_value
      - .offset:         68
        .size:           4
        .value_kind:     by_value
      - .offset:         72
        .size:           4
        .value_kind:     by_value
      - .offset:         76
        .size:           4
        .value_kind:     by_value
      - .offset:         80
        .size:           4
        .value_kind:     by_value
      - .offset:         84
        .size:           4
        .value_kind:     by_value
      - .offset:         88
        .size:           4
        .value_kind:     by_value
      - .offset:         92
        .size:           4
        .value_kind:     by_value
      - .offset:         96
        .size:           4
        .value_kind:     by_value
      - .offset:         100
        .size:           4
        .value_kind:     by_value
      - .offset:         104
        .size:           4
        .value_kind:     by_value
      - .offset:         112
        .size:           8
        .value_kind:     by_value
      - .offset:         120
        .size:           8
        .value_kind:     by_value
      - .offset:         128
        .size:           8
        .value_kind:     by_value
    .group_segment_fixed_size: 128
    .kernarg_segment_align: 8
    .kernarg_segment_size: 136
    .language:       OpenCL C
    .language_version:
      - 2
      - 0
    .max_flat_workgroup_size: 128
    .name:           _Z12ssm_scan_f32ILm128ELm16ELm8EEvPKfS1_S1_S1_S1_S1_PKiPfiiiiiiiiiiilll
    .private_segment_fixed_size: 0
    .sgpr_count:     38
    .sgpr_spill_count: 0
    .symbol:         _Z12ssm_scan_f32ILm128ELm16ELm8EEvPKfS1_S1_S1_S1_S1_PKiPfiiiiiiiiiiilll.kd
    .uniform_work_group_size: 1
    .uses_dynamic_stack: false
    .vgpr_count:     144
    .vgpr_spill_count: 0
    .wavefront_size: 32
  - .args:
      - .address_space:  global
        .offset:         0
        .size:           8
        .value_kind:     global_buffer
      - .address_space:  global
        .offset:         8
        .size:           8
        .value_kind:     global_buffer
      - .address_space:  global
        .offset:         16
        .size:           8
        .value_kind:     global_buffer
      - .address_space:  global
        .offset:         24
        .size:           8
        .value_kind:     global_buffer
      - .address_space:  global
        .offset:         32
        .size:           8
        .value_kind:     global_buffer
      - .address_space:  global
        .offset:         40
        .size:           8
        .value_kind:     global_buffer
      - .address_space:  global
        .offset:         48
        .size:           8
        .value_kind:     global_buffer
      - .address_space:  global
        .offset:         56
        .size:           8
        .value_kind:     global_buffer
      - .offset:         64
        .size:           4
        .value_kind:     by_value
      - .offset:         68
        .size:           4
        .value_kind:     by_value
      - .offset:         72
        .size:           4
        .value_kind:     by_value
      - .offset:         76
        .size:           4
        .value_kind:     by_value
      - .offset:         80
        .size:           4
        .value_kind:     by_value
      - .offset:         84
        .size:           4
        .value_kind:     by_value
      - .offset:         88
        .size:           4
        .value_kind:     by_value
      - .offset:         92
        .size:           4
        .value_kind:     by_value
      - .offset:         96
        .size:           4
        .value_kind:     by_value
      - .offset:         100
        .size:           4
        .value_kind:     by_value
      - .offset:         104
        .size:           4
        .value_kind:     by_value
      - .offset:         112
        .size:           8
        .value_kind:     by_value
      - .offset:         120
        .size:           8
        .value_kind:     by_value
      - .offset:         128
        .size:           8
        .value_kind:     by_value
    .group_segment_fixed_size: 128
    .kernarg_segment_align: 8
    .kernarg_segment_size: 136
    .language:       OpenCL C
    .language_version:
      - 2
      - 0
    .max_flat_workgroup_size: 128
    .name:           _Z12ssm_scan_f32ILm128ELm16ELm0EEvPKfS1_S1_S1_S1_S1_PKiPfiiiiiiiiiiilll
    .private_segment_fixed_size: 0
    .sgpr_count:     42
    .sgpr_spill_count: 0
    .symbol:         _Z12ssm_scan_f32ILm128ELm16ELm0EEvPKfS1_S1_S1_S1_S1_PKiPfiiiiiiiiiiilll.kd
    .uniform_work_group_size: 1
    .uses_dynamic_stack: false
    .vgpr_count:     72
    .vgpr_spill_count: 0
    .wavefront_size: 32
amdhsa.target:   amdgcn-amd-amdhsa--gfx1250
amdhsa.version:
  - 1
  - 2
...

	.end_amdgpu_metadata
